;; amdgpu-corpus repo=ROCm/rocFFT kind=compiled arch=gfx1201 opt=O3
	.text
	.amdgcn_target "amdgcn-amd-amdhsa--gfx1201"
	.amdhsa_code_object_version 6
	.protected	bluestein_single_fwd_len408_dim1_sp_op_CI_CI ; -- Begin function bluestein_single_fwd_len408_dim1_sp_op_CI_CI
	.globl	bluestein_single_fwd_len408_dim1_sp_op_CI_CI
	.p2align	8
	.type	bluestein_single_fwd_len408_dim1_sp_op_CI_CI,@function
bluestein_single_fwd_len408_dim1_sp_op_CI_CI: ; @bluestein_single_fwd_len408_dim1_sp_op_CI_CI
; %bb.0:
	s_load_b128 s[12:15], s[0:1], 0x28
	v_mul_u32_u24_e32 v1, 0xf10, v0
	s_mov_b32 s2, exec_lo
	s_delay_alu instid0(VALU_DEP_1) | instskip(NEXT) | instid1(VALU_DEP_1)
	v_lshrrev_b32_e32 v1, 16, v1
	v_mad_co_u64_u32 v[176:177], null, ttmp9, 3, v[1:2]
	v_mov_b32_e32 v177, 0
                                        ; kill: def $vgpr2 killed $sgpr0 killed $exec
	s_wait_kmcnt 0x0
	s_delay_alu instid0(VALU_DEP_1)
	v_cmpx_gt_u64_e64 s[12:13], v[176:177]
	s_cbranch_execz .LBB0_15
; %bb.1:
	s_clause 0x1
	s_load_b128 s[4:7], s[0:1], 0x18
	s_load_b64 s[12:13], s[0:1], 0x0
	v_mul_lo_u16 v1, v1, 17
	s_delay_alu instid0(VALU_DEP_1) | instskip(NEXT) | instid1(VALU_DEP_1)
	v_sub_nc_u16 v38, v0, v1
	v_and_b32_e32 v140, 0xffff, v38
	s_wait_kmcnt 0x0
	s_load_b128 s[8:11], s[4:5], 0x0
	s_wait_kmcnt 0x0
	v_mad_co_u64_u32 v[0:1], null, s10, v176, 0
	v_mad_co_u64_u32 v[2:3], null, s8, v140, 0
	s_mul_u64 s[2:3], s[8:9], 24
	s_mul_u64 s[4:5], s[8:9], 0x180
	s_lshl_b64 s[16:17], s[2:3], 3
	s_delay_alu instid0(VALU_DEP_1) | instskip(SKIP_1) | instid1(VALU_DEP_1)
	v_mad_co_u64_u32 v[12:13], null, s11, v176, v[1:2]
	s_load_b64 s[10:11], s[0:1], 0x38
	v_mov_b32_e32 v1, v12
	v_or_b32_e32 v118, 0x60, v140
	v_or_b32_e32 v114, 0xc0, v140
	;; [unrolled: 1-line block ×4, first 2 shown]
	v_lshlrev_b64_e32 v[0:1], 3, v[0:1]
	v_mad_co_u64_u32 v[4:5], null, s8, v118, 0
	v_mad_co_u64_u32 v[6:7], null, s8, v114, 0
	;; [unrolled: 1-line block ×4, first 2 shown]
	s_delay_alu instid0(VALU_DEP_4) | instskip(NEXT) | instid1(VALU_DEP_4)
	v_mad_co_u64_u32 v[13:14], null, s9, v140, v[3:4]
	v_mad_co_u64_u32 v[14:15], null, s9, v118, v[5:6]
	s_delay_alu instid0(VALU_DEP_4)
	v_mad_co_u64_u32 v[15:16], null, s9, v114, v[7:8]
	v_lshlrev_b32_e32 v72, 3, v140
	v_mad_co_u64_u32 v[16:17], null, s9, v115, v[9:10]
	v_mov_b32_e32 v3, v13
	v_mov_b32_e32 v5, v14
	v_mad_co_u64_u32 v[17:18], null, s9, v117, v[11:12]
	v_mov_b32_e32 v7, v15
	s_delay_alu instid0(VALU_DEP_4) | instskip(SKIP_4) | instid1(VALU_DEP_4)
	v_lshlrev_b64_e32 v[2:3], 3, v[2:3]
	v_add_co_u32 v18, vcc_lo, s14, v0
	v_lshlrev_b64_e32 v[4:5], 3, v[4:5]
	v_add_co_ci_u32_e32 v19, vcc_lo, s15, v1, vcc_lo
	v_lshlrev_b64_e32 v[6:7], 3, v[6:7]
	v_add_co_u32 v2, vcc_lo, v18, v2
	s_clause 0x1
	global_load_b64 v[177:178], v72, s[12:13]
	global_load_b64 v[143:144], v72, s[12:13] offset:768
	v_mov_b32_e32 v9, v16
	s_wait_alu 0xfffd
	v_add_co_ci_u32_e32 v3, vcc_lo, v19, v3, vcc_lo
	v_add_co_u32 v4, vcc_lo, v18, v4
	v_mov_b32_e32 v11, v17
	s_wait_alu 0xfffd
	v_add_co_ci_u32_e32 v5, vcc_lo, v19, v5, vcc_lo
	v_lshlrev_b64_e32 v[8:9], 3, v[8:9]
	v_add_co_u32 v6, vcc_lo, v18, v6
	s_wait_alu 0xfffd
	v_add_co_ci_u32_e32 v7, vcc_lo, v19, v7, vcc_lo
	v_lshlrev_b64_e32 v[0:1], 3, v[10:11]
	v_add_co_u32 v10, vcc_lo, v2, s16
	s_wait_alu 0xfffd
	v_add_co_ci_u32_e32 v11, vcc_lo, s17, v3, vcc_lo
	v_add_co_u32 v8, vcc_lo, v18, v8
	s_wait_alu 0xfffd
	v_add_co_ci_u32_e32 v9, vcc_lo, v19, v9, vcc_lo
	;; [unrolled: 3-line block ×3, first 2 shown]
	global_load_b64 v[4:5], v[4:5], off
	v_add_co_u32 v14, vcc_lo, v12, s16
	s_wait_alu 0xfffd
	v_add_co_ci_u32_e32 v15, vcc_lo, s17, v13, vcc_lo
	s_clause 0x1
	global_load_b64 v[16:17], v[2:3], off
	global_load_b64 v[10:11], v[10:11], off
	v_add_co_u32 v2, vcc_lo, v14, s4
	s_wait_alu 0xfffd
	v_add_co_ci_u32_e32 v3, vcc_lo, s5, v15, vcc_lo
	v_add_co_u32 v0, vcc_lo, v18, v0
	s_wait_alu 0xfffd
	v_add_co_ci_u32_e32 v1, vcc_lo, v19, v1, vcc_lo
	global_load_b64 v[6:7], v[6:7], off
	global_load_b64 v[131:132], v72, s[12:13] offset:1536
	global_load_b64 v[8:9], v[8:9], off
	global_load_b64 v[127:128], v72, s[12:13] offset:2304
	global_load_b64 v[18:19], v[0:1], off
	s_clause 0x1
	global_load_b64 v[119:120], v72, s[12:13] offset:3072
	global_load_b64 v[50:51], v72, s[12:13] offset:192
	v_add_co_u32 v0, vcc_lo, v2, s16
	s_wait_alu 0xfffd
	v_add_co_ci_u32_e32 v1, vcc_lo, s17, v3, vcc_lo
	s_clause 0x1
	global_load_b64 v[12:13], v[12:13], off
	global_load_b64 v[14:15], v[14:15], off
	v_add_co_u32 v20, vcc_lo, v0, s16
	s_wait_alu 0xfffd
	v_add_co_ci_u32_e32 v21, vcc_lo, s17, v1, vcc_lo
	s_clause 0x1
	global_load_b64 v[52:53], v72, s[12:13] offset:384
	global_load_b64 v[48:49], v72, s[12:13] offset:576
	global_load_b64 v[22:23], v[2:3], off
	global_load_b64 v[24:25], v[0:1], off
	;; [unrolled: 1-line block ×3, first 2 shown]
	v_add_co_u32 v0, vcc_lo, v20, s4
	s_wait_alu 0xfffd
	v_add_co_ci_u32_e32 v1, vcc_lo, s5, v21, vcc_lo
	s_clause 0x2
	global_load_b64 v[147:148], v72, s[12:13] offset:960
	global_load_b64 v[145:146], v72, s[12:13] offset:1152
	;; [unrolled: 1-line block ×3, first 2 shown]
	v_add_co_u32 v2, vcc_lo, v0, s16
	s_wait_alu 0xfffd
	v_add_co_ci_u32_e32 v3, vcc_lo, s17, v1, vcc_lo
	global_load_b64 v[20:21], v[0:1], off
	v_add_co_u32 v0, vcc_lo, v2, s16
	s_wait_alu 0xfffd
	v_add_co_ci_u32_e32 v1, vcc_lo, s17, v3, vcc_lo
	global_load_b64 v[133:134], v72, s[12:13] offset:1728
	v_add_co_u32 v28, vcc_lo, v0, s4
	s_wait_alu 0xfffd
	v_add_co_ci_u32_e32 v29, vcc_lo, s5, v1, vcc_lo
	global_load_b64 v[30:31], v[2:3], off
	global_load_b64 v[32:33], v[0:1], off
	s_clause 0x1
	global_load_b64 v[135:136], v72, s[12:13] offset:1920
	global_load_b64 v[129:130], v72, s[12:13] offset:2112
	global_load_b64 v[34:35], v[28:29], off
	v_add_co_u32 v2, vcc_lo, v28, s16
	s_wait_alu 0xfffd
	v_add_co_ci_u32_e32 v3, vcc_lo, s17, v29, vcc_lo
	global_load_b64 v[125:126], v72, s[12:13] offset:2496
	v_add_co_u32 v0, vcc_lo, v2, s16
	s_wait_alu 0xfffd
	v_add_co_ci_u32_e32 v1, vcc_lo, s17, v3, vcc_lo
	global_load_b64 v[28:29], v[2:3], off
	s_clause 0x1
	global_load_b64 v[123:124], v72, s[12:13] offset:2688
	global_load_b64 v[121:122], v72, s[12:13] offset:2880
	global_load_b64 v[36:37], v[0:1], off
	v_mul_hi_u32 v2, 0xaaaaaaab, v176
	v_cmp_gt_u16_e32 vcc_lo, 7, v38
	s_load_b128 s[4:7], s[6:7], 0x0
	v_add_co_u32 v112, s2, s12, v72
	s_delay_alu instid0(VALU_DEP_1) | instskip(NEXT) | instid1(VALU_DEP_4)
	v_add_co_ci_u32_e64 v113, null, s13, 0, s2
	v_lshrrev_b32_e32 v2, 1, v2
	s_delay_alu instid0(VALU_DEP_1) | instskip(NEXT) | instid1(VALU_DEP_1)
	v_lshl_add_u32 v2, v2, 1, v2
	v_sub_nc_u32_e32 v2, v176, v2
	s_delay_alu instid0(VALU_DEP_1) | instskip(NEXT) | instid1(VALU_DEP_1)
	v_mul_u32_u24_e32 v73, 0x198, v2
	v_lshlrev_b32_e32 v116, 3, v73
	s_delay_alu instid0(VALU_DEP_1)
	v_add_nc_u32_e32 v175, v72, v116
	s_wait_loadcnt 0x1f
	v_mul_f32_e32 v40, v5, v144
	s_wait_loadcnt 0x1e
	v_mul_f32_e32 v38, v17, v178
	v_mul_f32_e32 v39, v16, v178
	s_wait_loadcnt 0x1b
	v_dual_fmac_f32 v40, v4, v143 :: v_dual_mul_f32 v43, v6, v132
	s_delay_alu instid0(VALU_DEP_3)
	v_fmac_f32_e32 v38, v16, v177
	s_wait_loadcnt 0x19
	v_mul_f32_e32 v44, v9, v128
	v_fma_f32 v39, v17, v177, -v39
	s_wait_loadcnt 0x16
	v_dual_mul_f32 v46, v19, v120 :: v_dual_mul_f32 v17, v10, v51
	v_dual_mul_f32 v45, v8, v128 :: v_dual_mul_f32 v16, v11, v51
	v_dual_mul_f32 v42, v7, v132 :: v_dual_add_nc_u32 v3, 0x400, v175
	v_mul_f32_e32 v41, v4, v144
	v_dual_mul_f32 v47, v18, v120 :: v_dual_fmac_f32 v44, v8, v127
	v_fmac_f32_e32 v46, v18, v119
	v_fma_f32 v45, v9, v127, -v45
	s_wait_loadcnt 0x13
	v_mul_f32_e32 v4, v13, v53
	v_fmac_f32_e32 v42, v6, v131
	v_fma_f32 v41, v5, v143, -v41
	s_wait_loadcnt 0xe
	v_mul_f32_e32 v9, v22, v148
	v_mul_f32_e32 v8, v23, v148
	v_fma_f32 v43, v7, v131, -v43
	v_dual_fmac_f32 v16, v10, v50 :: v_dual_mul_f32 v5, v12, v53
	v_mul_f32_e32 v6, v15, v49
	v_mul_f32_e32 v7, v14, v49
	v_fma_f32 v17, v11, v50, -v17
	v_fmac_f32_e32 v8, v22, v147
	v_fma_f32 v9, v23, v147, -v9
	v_fmac_f32_e32 v4, v12, v52
	;; [unrolled: 2-line block ×3, first 2 shown]
	v_fma_f32 v7, v15, v48, -v7
	s_clause 0x2
	scratch_store_b64 off, v[50:51], off offset:8
	scratch_store_b64 off, v[52:53], off offset:16
	scratch_store_b64 off, v[48:49], off
	s_wait_loadcnt 0x6
	v_mul_f32_e32 v13, v32, v130
	ds_store_2addr_b64 v175, v[38:39], v[16:17] offset1:24
	ds_store_2addr_b64 v175, v[4:5], v[6:7] offset0:48 offset1:72
	v_mul_f32_e32 v5, v24, v146
	v_mul_f32_e32 v7, v26, v142
	;; [unrolled: 1-line block ×5, first 2 shown]
	v_fma_f32 v11, v25, v145, -v5
	s_wait_loadcnt 0x2
	v_mul_f32_e32 v17, v28, v124
	ds_store_2addr_b64 v175, v[40:41], v[8:9] offset0:96 offset1:120
	v_mul_f32_e32 v9, v20, v134
	v_fma_f32 v5, v27, v141, -v7
	v_mul_f32_e32 v8, v31, v136
	v_mul_f32_e32 v12, v33, v130
	;; [unrolled: 1-line block ×3, first 2 shown]
	v_fma_f32 v7, v21, v133, -v9
	v_dual_mul_f32 v9, v30, v136 :: v_dual_fmac_f32 v10, v24, v145
	v_mul_f32_e32 v15, v34, v126
	v_fma_f32 v47, v19, v119, -v47
	s_wait_loadcnt 0x0
	v_dual_fmac_f32 v4, v26, v141 :: v_dual_mul_f32 v19, v36, v122
	v_mul_f32_e32 v16, v29, v124
	v_mul_f32_e32 v18, v37, v122
	v_add_nc_u32_e32 v2, 0x800, v175
	v_fmac_f32_e32 v6, v20, v133
	v_fmac_f32_e32 v8, v30, v135
	v_fma_f32 v9, v31, v135, -v9
	v_fmac_f32_e32 v12, v32, v129
	v_fma_f32 v13, v33, v129, -v13
	;; [unrolled: 2-line block ×5, first 2 shown]
	ds_store_2addr_b64 v175, v[10:11], v[4:5] offset0:144 offset1:168
	ds_store_2addr_b64 v175, v[42:43], v[6:7] offset0:192 offset1:216
	;; [unrolled: 1-line block ×5, first 2 shown]
	ds_store_b64 v175, v[46:47] offset:3072
	s_and_saveexec_b32 s3, vcc_lo
	s_cbranch_execz .LBB0_3
; %bb.2:
	v_mad_co_u64_u32 v[0:1], null, 0xfffff548, s8, v[0:1]
	s_mul_i32 s2, s9, 0xfffff548
	s_clause 0x3
	global_load_b64 v[8:9], v[112:113], off offset:136
	global_load_b64 v[10:11], v[112:113], off offset:328
	;; [unrolled: 1-line block ×4, first 2 shown]
	s_wait_alu 0xfffe
	s_sub_co_i32 s2, s2, s8
	s_clause 0x3
	global_load_b64 v[18:19], v[112:113], off offset:904
	global_load_b64 v[20:21], v[112:113], off offset:1096
	;; [unrolled: 1-line block ×4, first 2 shown]
	s_wait_alu 0xfffe
	v_add_nc_u32_e32 v1, s2, v1
	v_add_co_u32 v4, s2, v0, s16
	s_wait_alu 0xf1ff
	s_delay_alu instid0(VALU_DEP_2) | instskip(NEXT) | instid1(VALU_DEP_2)
	v_add_co_ci_u32_e64 v5, s2, s17, v1, s2
	v_add_co_u32 v6, s2, v4, s16
	global_load_b64 v[0:1], v[0:1], off
	s_wait_alu 0xf1ff
	v_add_co_ci_u32_e64 v7, s2, s17, v5, s2
	v_add_co_u32 v16, s2, v6, s16
	global_load_b64 v[4:5], v[4:5], off
	s_wait_alu 0xf1ff
	;; [unrolled: 4-line block ×5, first 2 shown]
	v_add_co_ci_u32_e64 v31, s2, s17, v29, s2
	v_add_co_u32 v32, s2, v30, s16
	s_wait_alu 0xf1ff
	s_delay_alu instid0(VALU_DEP_2) | instskip(NEXT) | instid1(VALU_DEP_2)
	v_add_co_ci_u32_e64 v33, s2, s17, v31, s2
	v_add_co_u32 v34, s2, v32, s16
	s_wait_alu 0xf1ff
	s_delay_alu instid0(VALU_DEP_2) | instskip(NEXT) | instid1(VALU_DEP_2)
	v_add_co_ci_u32_e64 v35, s2, s17, v33, s2
	v_add_co_u32 v36, s2, v34, s16
	s_wait_alu 0xf1ff
	s_delay_alu instid0(VALU_DEP_2)
	v_add_co_ci_u32_e64 v37, s2, s17, v35, s2
	global_load_b64 v[28:29], v[28:29], off
	global_load_b64 v[30:31], v[30:31], off
	;; [unrolled: 1-line block ×5, first 2 shown]
	v_add_co_u32 v36, s2, v36, s16
	s_wait_alu 0xf1ff
	v_add_co_ci_u32_e64 v37, s2, s17, v37, s2
	s_clause 0x1
	global_load_b64 v[40:41], v[112:113], off offset:1672
	global_load_b64 v[42:43], v[112:113], off offset:1864
	v_add_co_u32 v44, s2, v36, s16
	s_wait_alu 0xf1ff
	v_add_co_ci_u32_e64 v45, s2, s17, v37, s2
	global_load_b64 v[36:37], v[36:37], off
	v_add_co_u32 v46, s2, v44, s16
	s_wait_alu 0xf1ff
	v_add_co_ci_u32_e64 v47, s2, s17, v45, s2
	global_load_b64 v[44:45], v[44:45], off
	v_add_co_u32 v48, s2, v46, s16
	s_wait_alu 0xf1ff
	v_add_co_ci_u32_e64 v49, s2, s17, v47, s2
	s_clause 0x1
	global_load_b64 v[50:51], v[112:113], off offset:2056
	global_load_b64 v[52:53], v[112:113], off offset:2248
	v_add_co_u32 v54, s2, v48, s16
	s_wait_alu 0xf1ff
	v_add_co_ci_u32_e64 v55, s2, s17, v49, s2
	global_load_b64 v[46:47], v[46:47], off
	global_load_b64 v[48:49], v[48:49], off
	s_clause 0x1
	global_load_b64 v[56:57], v[112:113], off offset:2440
	global_load_b64 v[58:59], v[112:113], off offset:2632
	global_load_b64 v[60:61], v[54:55], off
	v_add_co_u32 v54, s2, v54, s16
	s_wait_alu 0xf1ff
	v_add_co_ci_u32_e64 v55, s2, s17, v55, s2
	global_load_b64 v[62:63], v[112:113], off offset:2824
	v_add_co_u32 v64, s2, v54, s16
	s_wait_alu 0xf1ff
	v_add_co_ci_u32_e64 v65, s2, s17, v55, s2
	global_load_b64 v[54:55], v[54:55], off
	s_clause 0x1
	global_load_b64 v[66:67], v[112:113], off offset:3016
	global_load_b64 v[68:69], v[112:113], off offset:3208
	global_load_b64 v[64:65], v[64:65], off
	s_wait_loadcnt 0x19
	v_mul_f32_e32 v70, v1, v9
	v_mul_f32_e32 v71, v0, v9
	s_wait_loadcnt 0x18
	v_mul_f32_e32 v9, v5, v11
	s_delay_alu instid0(VALU_DEP_2)
	v_fma_f32 v71, v1, v8, -v71
	v_mul_f32_e32 v1, v4, v11
	v_fmac_f32_e32 v70, v0, v8
	s_wait_loadcnt 0x17
	v_dual_mul_f32 v0, v7, v13 :: v_dual_fmac_f32 v9, v4, v10
	v_mul_f32_e32 v8, v6, v13
	v_fma_f32 v10, v5, v10, -v1
	s_wait_loadcnt 0x16
	v_mul_f32_e32 v4, v17, v15
	v_dual_mul_f32 v11, v16, v15 :: v_dual_fmac_f32 v0, v6, v12
	v_fma_f32 v1, v7, v12, -v8
	ds_store_2addr_b64 v175, v[70:71], v[9:10] offset0:17 offset1:41
	s_wait_loadcnt 0x15
	v_dual_fmac_f32 v4, v16, v14 :: v_dual_mul_f32 v7, v26, v19
	v_fma_f32 v5, v17, v14, -v11
	v_mul_f32_e32 v6, v27, v19
	s_delay_alu instid0(VALU_DEP_3)
	v_fma_f32 v7, v27, v18, -v7
	ds_store_2addr_b64 v175, v[0:1], v[4:5] offset0:65 offset1:89
	s_wait_loadcnt 0x14
	v_mul_f32_e32 v1, v28, v21
	s_wait_loadcnt 0x13
	v_dual_mul_f32 v8, v29, v21 :: v_dual_mul_f32 v5, v30, v23
	v_mul_f32_e32 v0, v31, v23
	s_wait_loadcnt 0x12
	v_mul_f32_e32 v4, v33, v25
	v_mul_f32_e32 v10, v32, v25
	v_fmac_f32_e32 v6, v26, v18
	s_wait_loadcnt 0xf
	v_dual_fmac_f32 v8, v28, v20 :: v_dual_mul_f32 v11, v34, v41
	v_fma_f32 v9, v29, v20, -v1
	v_fmac_f32_e32 v0, v30, v22
	v_fma_f32 v1, v31, v22, -v5
	v_fmac_f32_e32 v4, v32, v24
	v_fma_f32 v11, v35, v40, -v11
	s_wait_loadcnt 0x6
	v_mul_f32_e32 v13, v48, v59
	v_mul_f32_e32 v12, v49, v59
	s_delay_alu instid0(VALU_DEP_2) | instskip(SKIP_2) | instid1(VALU_DEP_3)
	v_fma_f32 v13, v49, v58, -v13
	s_wait_loadcnt 0x4
	v_mul_f32_e32 v14, v61, v63
	v_fmac_f32_e32 v12, v48, v58
	v_mul_f32_e32 v15, v60, v63
	s_wait_loadcnt 0x2
	v_mul_f32_e32 v17, v54, v67
	v_fma_f32 v5, v33, v24, -v10
	v_mul_f32_e32 v10, v35, v41
	v_mul_f32_e32 v16, v55, v67
	s_wait_loadcnt 0x0
	v_mul_f32_e32 v18, v65, v69
	v_mul_f32_e32 v19, v64, v69
	ds_store_2addr_b64 v175, v[0:1], v[4:5] offset0:161 offset1:185
	v_mul_f32_e32 v1, v38, v43
	v_mul_f32_e32 v5, v36, v51
	ds_store_2addr_b64 v175, v[6:7], v[8:9] offset0:113 offset1:137
	v_dual_mul_f32 v9, v44, v53 :: v_dual_mul_f32 v6, v39, v43
	v_mul_f32_e32 v0, v37, v51
	v_mul_f32_e32 v4, v45, v53
	v_fma_f32 v7, v39, v42, -v1
	v_fma_f32 v1, v37, v50, -v5
	v_mul_f32_e32 v8, v47, v57
	v_fma_f32 v5, v45, v52, -v9
	v_mul_f32_e32 v9, v46, v57
	v_fmac_f32_e32 v10, v34, v40
	v_fmac_f32_e32 v6, v38, v42
	;; [unrolled: 1-line block ×5, first 2 shown]
	v_fma_f32 v9, v47, v56, -v9
	v_fmac_f32_e32 v14, v60, v62
	v_fma_f32 v15, v61, v62, -v15
	v_fmac_f32_e32 v16, v54, v66
	;; [unrolled: 2-line block ×3, first 2 shown]
	v_fma_f32 v19, v65, v68, -v19
	ds_store_2addr_b64 v175, v[10:11], v[6:7] offset0:209 offset1:233
	ds_store_2addr_b64 v2, v[0:1], v[4:5] offset0:1 offset1:25
	;; [unrolled: 1-line block ×4, first 2 shown]
	ds_store_b64 v175, v[18:19] offset:3208
.LBB0_3:
	s_wait_alu 0xfffe
	s_or_b32 exec_lo, exec_lo, s3
	global_wb scope:SCOPE_SE
	s_wait_storecnt_dscnt 0x0
	s_wait_kmcnt 0x0
	s_barrier_signal -1
	s_barrier_wait -1
	global_inv scope:SCOPE_SE
	ds_load_2addr_b64 v[60:63], v175 offset1:24
	ds_load_2addr_b64 v[52:55], v175 offset0:48 offset1:72
	ds_load_2addr_b64 v[44:47], v175 offset0:96 offset1:120
	;; [unrolled: 1-line block ×7, first 2 shown]
	ds_load_b64 v[66:67], v175 offset:3072
	s_load_b64 s[0:1], s[0:1], 0x8
	v_mov_b32_e32 v0, 0
	v_mov_b32_e32 v1, 0
                                        ; kill: def $vgpr2 killed $sgpr0 killed $exec
                                        ; implicit-def: $vgpr18
                                        ; implicit-def: $vgpr4
                                        ; implicit-def: $vgpr8
                                        ; implicit-def: $vgpr12
                                        ; implicit-def: $vgpr64
                                        ; implicit-def: $vgpr22
                                        ; implicit-def: $vgpr26
                                        ; implicit-def: $vgpr34
	s_and_saveexec_b32 s2, vcc_lo
	s_cbranch_execz .LBB0_5
; %bb.4:
	v_add_nc_u32_e32 v12, 0x800, v175
	ds_load_2addr_b64 v[0:3], v175 offset0:17 offset1:41
	ds_load_2addr_b64 v[32:35], v175 offset0:65 offset1:89
	;; [unrolled: 1-line block ×8, first 2 shown]
	ds_load_b64 v[64:65], v175 offset:3208
.LBB0_5:
	s_wait_alu 0xfffe
	s_or_b32 exec_lo, exec_lo, s2
	s_wait_dscnt 0x8
	v_dual_add_f32 v68, v60, v62 :: v_dual_add_f32 v69, v61, v63
	s_wait_dscnt 0x0
	v_dual_add_f32 v70, v66, v62 :: v_dual_sub_f32 v71, v63, v67
	v_dual_sub_f32 v74, v62, v66 :: v_dual_add_f32 v75, v67, v63
	s_delay_alu instid0(VALU_DEP_3) | instskip(NEXT) | instid1(VALU_DEP_3)
	v_dual_add_f32 v68, v68, v52 :: v_dual_add_f32 v69, v69, v53
	v_mul_f32_e32 v62, 0xbeb8f4ab, v71
	s_delay_alu instid0(VALU_DEP_3) | instskip(NEXT) | instid1(VALU_DEP_3)
	v_dual_mul_f32 v76, 0xbf2c7751, v71 :: v_dual_mul_f32 v77, 0xbf2c7751, v74
	v_dual_add_f32 v63, v68, v54 :: v_dual_add_f32 v68, v69, v55
	v_mul_f32_e32 v69, 0xbeb8f4ab, v74
	s_delay_alu instid0(VALU_DEP_3) | instskip(SKIP_1) | instid1(VALU_DEP_4)
	v_fma_f32 v86, 0x3f3d2fb0, v70, -v76
	v_fma_f32 v84, 0x3f6eb680, v70, -v62
	v_dual_add_f32 v63, v63, v44 :: v_dual_add_f32 v68, v68, v45
	v_mul_f32_e32 v80, 0xbf7ee86f, v71
	v_dual_fmamk_f32 v85, v75, 0x3f6eb680, v69 :: v_dual_fmac_f32 v62, 0x3f6eb680, v70
	s_delay_alu instid0(VALU_DEP_3) | instskip(SKIP_2) | instid1(VALU_DEP_3)
	v_dual_add_f32 v63, v63, v46 :: v_dual_add_f32 v68, v68, v47
	v_mul_f32_e32 v81, 0xbf7ee86f, v74
	v_fma_f32 v69, 0x3f6eb680, v75, -v69
	v_dual_add_f32 v92, v60, v62 :: v_dual_add_f32 v63, v63, v36
	s_delay_alu instid0(VALU_DEP_4) | instskip(SKIP_2) | instid1(VALU_DEP_3)
	v_add_f32_e32 v68, v68, v37
	v_dual_mul_f32 v78, 0xbf65296c, v71 :: v_dual_mul_f32 v79, 0xbf65296c, v74
	v_fma_f32 v90, 0x3dbcf732, v70, -v80
	v_dual_add_f32 v63, v63, v38 :: v_dual_add_f32 v68, v68, v39
	v_fmamk_f32 v87, v75, 0x3f3d2fb0, v77
	s_delay_alu instid0(VALU_DEP_4) | instskip(NEXT) | instid1(VALU_DEP_3)
	v_fma_f32 v88, 0x3ee437d1, v70, -v78
	v_dual_fmac_f32 v76, 0x3f3d2fb0, v70 :: v_dual_add_f32 v63, v63, v28
	s_delay_alu instid0(VALU_DEP_4) | instskip(SKIP_2) | instid1(VALU_DEP_3)
	v_dual_add_f32 v68, v68, v29 :: v_dual_fmamk_f32 v89, v75, 0x3ee437d1, v79
	v_fmac_f32_e32 v78, 0x3ee437d1, v70
	v_fma_f32 v79, 0x3ee437d1, v75, -v79
	v_dual_add_f32 v63, v63, v30 :: v_dual_add_f32 v68, v68, v31
	v_dual_fmamk_f32 v91, v75, 0x3dbcf732, v81 :: v_dual_fmac_f32 v80, 0x3dbcf732, v70
	v_fma_f32 v81, 0x3dbcf732, v75, -v81
	s_delay_alu instid0(VALU_DEP_3) | instskip(SKIP_2) | instid1(VALU_DEP_3)
	v_dual_add_f32 v63, v63, v40 :: v_dual_add_f32 v68, v68, v41
	v_dual_mul_f32 v82, 0xbf763a35, v71 :: v_dual_mul_f32 v83, 0xbf763a35, v74
	v_fma_f32 v77, 0x3f3d2fb0, v75, -v77
	v_dual_add_f32 v63, v63, v42 :: v_dual_add_f32 v68, v68, v43
	v_dual_add_f32 v84, v60, v84 :: v_dual_add_f32 v85, v61, v85
	s_delay_alu instid0(VALU_DEP_3) | instskip(NEXT) | instid1(VALU_DEP_3)
	v_dual_add_f32 v86, v60, v86 :: v_dual_add_f32 v77, v61, v77
	v_dual_add_f32 v63, v63, v48 :: v_dual_add_f32 v68, v68, v49
	v_add_f32_e32 v69, v61, v69
	v_add_co_u32 v254, null, v140, 17
	s_delay_alu instid0(VALU_DEP_3) | instskip(SKIP_2) | instid1(VALU_DEP_3)
	v_dual_add_f32 v62, v63, v50 :: v_dual_add_f32 v63, v68, v51
	v_dual_add_f32 v68, v61, v87 :: v_dual_add_f32 v87, v60, v88
	v_add_f32_e32 v88, v61, v89
	v_dual_add_f32 v62, v62, v56 :: v_dual_add_f32 v79, v61, v79
	s_delay_alu instid0(VALU_DEP_4) | instskip(SKIP_1) | instid1(VALU_DEP_2)
	v_dual_add_f32 v63, v63, v57 :: v_dual_add_f32 v76, v60, v76
	v_dual_add_f32 v89, v60, v90 :: v_dual_add_f32 v90, v61, v91
	;; [unrolled: 1-line block ×3, first 2 shown]
	v_dual_add_f32 v78, v60, v78 :: v_dual_mul_f32 v91, 0xbf4c4adb, v71
	v_mul_u32_u24_e32 v139, 17, v254
	global_wb scope:SCOPE_SE
	v_add_f32_e32 v63, v63, v67
	v_dual_add_f32 v67, v60, v80 :: v_dual_add_f32 v80, v61, v81
	v_dual_add_f32 v62, v62, v66 :: v_dual_fmamk_f32 v81, v75, 0xbe8c1d8e, v83
	v_fma_f32 v66, 0xbe8c1d8e, v70, -v82
	v_fma_f32 v83, 0xbe8c1d8e, v75, -v83
	v_fmac_f32_e32 v82, 0xbe8c1d8e, v70
	v_fma_f32 v93, 0xbf1a4643, v70, -v91
	v_mul_f32_e32 v94, 0xbf4c4adb, v74
	v_mul_f32_e32 v95, 0xbf06c442, v71
	s_delay_alu instid0(VALU_DEP_4) | instskip(NEXT) | instid1(VALU_DEP_3)
	v_dual_add_f32 v83, v61, v83 :: v_dual_add_f32 v82, v60, v82
	v_dual_add_f32 v93, v60, v93 :: v_dual_fmamk_f32 v96, v75, 0xbf1a4643, v94
	v_fmac_f32_e32 v91, 0xbf1a4643, v70
	v_fma_f32 v94, 0xbf1a4643, v75, -v94
	v_mul_f32_e32 v98, 0xbf06c442, v74
	v_dual_mul_f32 v71, 0xbe3c28d5, v71 :: v_dual_mul_f32 v74, 0xbe3c28d5, v74
	s_delay_alu instid0(VALU_DEP_3) | instskip(NEXT) | instid1(VALU_DEP_3)
	v_dual_add_f32 v91, v60, v91 :: v_dual_add_f32 v94, v61, v94
	v_fmamk_f32 v99, v75, 0xbf59a7d5, v98
	v_fma_f32 v98, 0xbf59a7d5, v75, -v98
	s_delay_alu instid0(VALU_DEP_4)
	v_fmamk_f32 v101, v75, 0xbf7ba420, v74
	v_fma_f32 v97, 0xbf59a7d5, v70, -v95
	v_dual_fmac_f32 v95, 0xbf59a7d5, v70 :: v_dual_sub_f32 v102, v53, v59
	v_fma_f32 v100, 0xbf7ba420, v70, -v71
	v_add_f32_e32 v98, v61, v98
	v_add_f32_e32 v101, v61, v101
	v_fmac_f32_e32 v71, 0xbf7ba420, v70
	v_dual_add_f32 v103, v58, v52 :: v_dual_sub_f32 v52, v52, v58
	v_dual_add_f32 v95, v60, v95 :: v_dual_mul_f32 v58, 0xbf2c7751, v102
	v_fma_f32 v70, 0xbf7ba420, v75, -v74
	v_add_f32_e32 v53, v59, v53
	s_delay_alu instid0(VALU_DEP_4)
	v_dual_mul_f32 v59, 0xbf2c7751, v52 :: v_dual_add_f32 v66, v60, v66
	v_add_f32_e32 v81, v61, v81
	v_dual_add_f32 v96, v61, v96 :: v_dual_add_f32 v97, v60, v97
	v_dual_add_f32 v99, v61, v99 :: v_dual_add_f32 v100, v60, v100
	v_add_f32_e32 v60, v60, v71
	v_fma_f32 v74, 0x3f3d2fb0, v103, -v58
	v_dual_add_f32 v61, v61, v70 :: v_dual_fmac_f32 v58, 0x3f3d2fb0, v103
	v_mul_f32_e32 v70, 0xbf7ee86f, v102
	s_delay_alu instid0(VALU_DEP_3) | instskip(SKIP_1) | instid1(VALU_DEP_4)
	v_dual_fmamk_f32 v71, v53, 0x3f3d2fb0, v59 :: v_dual_add_f32 v74, v74, v84
	v_mul_f32_e32 v84, 0xbf7ee86f, v52
	v_add_f32_e32 v58, v58, v92
	s_delay_alu instid0(VALU_DEP_4) | instskip(NEXT) | instid1(VALU_DEP_4)
	v_fma_f32 v75, 0x3dbcf732, v103, -v70
	v_dual_add_f32 v71, v71, v85 :: v_dual_fmac_f32 v70, 0x3dbcf732, v103
	s_delay_alu instid0(VALU_DEP_4)
	v_fmamk_f32 v85, v53, 0x3dbcf732, v84
	v_fma_f32 v84, 0x3dbcf732, v53, -v84
	s_wait_kmcnt 0x0
	s_barrier_signal -1
	s_barrier_wait -1
	v_add_f32_e32 v70, v70, v76
	v_add_f32_e32 v68, v85, v68
	;; [unrolled: 1-line block ×3, first 2 shown]
	v_fma_f32 v59, 0x3f3d2fb0, v53, -v59
	v_mul_f32_e32 v85, 0xbe3c28d5, v102
	global_inv scope:SCOPE_SE
	v_sub_f32_e32 v152, v33, v15
	v_sub_f32_e32 v164, v35, v13
	v_add_f32_e32 v59, v59, v69
	v_add_f32_e32 v69, v75, v86
	v_dual_mul_f32 v75, 0xbf4c4adb, v102 :: v_dual_mul_f32 v86, 0xbf4c4adb, v52
	s_delay_alu instid0(VALU_DEP_4) | instskip(SKIP_2) | instid1(VALU_DEP_4)
	v_mul_f32_e32 v186, 0xbf65296c, v164
	v_sub_f32_e32 v182, v25, v11
	v_sub_f32_e32 v207, v21, v7
	v_fma_f32 v92, 0xbf1a4643, v103, -v75
	v_fmamk_f32 v77, v53, 0xbf1a4643, v86
	v_fma_f32 v86, 0xbf1a4643, v53, -v86
	v_mul_f32_e32 v188, 0x3f763a35, v182
	v_dual_sub_f32 v210, v20, v6 :: v_dual_mul_f32 v209, 0x3f763a35, v207
	v_add_f32_e32 v84, v92, v87
	v_fmac_f32_e32 v75, 0xbf1a4643, v103
	v_mul_f32_e32 v226, 0x3f7ee86f, v207
	s_delay_alu instid0(VALU_DEP_4)
	v_mul_f32_e32 v218, 0xbe3c28d5, v210
	v_mul_f32_e32 v219, 0xbeb8f4ab, v207
	;; [unrolled: 1-line block ×3, first 2 shown]
	v_dual_add_f32 v75, v75, v78 :: v_dual_add_f32 v78, v86, v79
	v_add_f32_e32 v77, v77, v88
	v_fma_f32 v88, 0xbf7ba420, v103, -v85
	v_mul_f32_e32 v79, 0x3f06c442, v102
	v_dual_sub_f32 v251, v17, v19 :: v_dual_sub_f32 v252, v16, v18
	s_delay_alu instid0(VALU_DEP_3) | instskip(NEXT) | instid1(VALU_DEP_3)
	v_add_f32_e32 v88, v88, v89
	v_fma_f32 v89, 0xbf59a7d5, v103, -v79
	s_delay_alu instid0(VALU_DEP_3) | instskip(SKIP_2) | instid1(VALU_DEP_4)
	v_mul_f32_e32 v227, 0x3f2c7751, v251
	v_mul_f32_e32 v87, 0xbe3c28d5, v52
	v_dual_mul_f32 v236, 0x3eb8f4ab, v251 :: v_dual_mul_f32 v237, 0x3eb8f4ab, v252
	v_add_f32_e32 v66, v89, v66
	v_dual_mul_f32 v242, 0xbf06c442, v251 :: v_dual_mul_f32 v243, 0xbf06c442, v252
	s_delay_alu instid0(VALU_DEP_4) | instskip(SKIP_3) | instid1(VALU_DEP_4)
	v_fmamk_f32 v86, v53, 0xbf7ba420, v87
	v_fma_f32 v87, 0xbf7ba420, v53, -v87
	v_fmac_f32_e32 v85, 0xbf7ba420, v103
	v_dual_mul_f32 v244, 0xbf4c4adb, v251 :: v_dual_mul_f32 v245, 0xbf4c4adb, v252
	v_add_f32_e32 v86, v86, v90
	v_mul_f32_e32 v90, 0x3f06c442, v52
	s_delay_alu instid0(VALU_DEP_4) | instskip(SKIP_2) | instid1(VALU_DEP_4)
	v_dual_add_f32 v80, v87, v80 :: v_dual_add_f32 v67, v85, v67
	v_fmac_f32_e32 v79, 0xbf59a7d5, v103
	v_mul_f32_e32 v247, 0xbe3c28d5, v252
	v_fmamk_f32 v87, v53, 0xbf59a7d5, v90
	v_fma_f32 v89, 0xbf59a7d5, v53, -v90
	v_dual_mul_f32 v85, 0x3f763a35, v102 :: v_dual_mul_f32 v90, 0x3f763a35, v52
	s_delay_alu instid0(VALU_DEP_2) | instskip(NEXT) | instid1(VALU_DEP_2)
	v_dual_add_f32 v79, v79, v82 :: v_dual_add_f32 v82, v89, v83
	v_fma_f32 v92, 0xbe8c1d8e, v103, -v85
	s_delay_alu instid0(VALU_DEP_3) | instskip(SKIP_2) | instid1(VALU_DEP_2)
	v_fmamk_f32 v83, v53, 0xbe8c1d8e, v90
	v_fma_f32 v90, 0xbe8c1d8e, v53, -v90
	v_mul_f32_e32 v89, 0x3f65296c, v102
	v_dual_fmac_f32 v85, 0xbe8c1d8e, v103 :: v_dual_add_f32 v90, v90, v94
	v_add_f32_e32 v81, v87, v81
	v_dual_add_f32 v87, v92, v93 :: v_dual_mul_f32 v92, 0x3f65296c, v52
	v_mul_f32_e32 v52, 0x3eb8f4ab, v52
	v_fma_f32 v93, 0x3ee437d1, v103, -v89
	s_delay_alu instid0(VALU_DEP_3) | instskip(SKIP_1) | instid1(VALU_DEP_3)
	v_dual_fmac_f32 v89, 0x3ee437d1, v103 :: v_dual_fmamk_f32 v94, v53, 0x3ee437d1, v92
	v_fma_f32 v92, 0x3ee437d1, v53, -v92
	v_add_f32_e32 v93, v93, v97
	v_fmamk_f32 v97, v53, 0x3f6eb680, v52
	v_fma_f32 v52, 0x3f6eb680, v53, -v52
	v_add_f32_e32 v94, v94, v99
	v_add_f32_e32 v92, v92, v98
	v_dual_sub_f32 v98, v54, v56 :: v_dual_add_f32 v85, v85, v91
	s_delay_alu instid0(VALU_DEP_4) | instskip(SKIP_2) | instid1(VALU_DEP_3)
	v_dual_mul_f32 v91, 0x3eb8f4ab, v102 :: v_dual_add_f32 v52, v52, v61
	v_dual_add_f32 v83, v83, v96 :: v_dual_add_f32 v54, v56, v54
	v_add_f32_e32 v89, v89, v95
	v_fma_f32 v96, 0x3f6eb680, v103, -v91
	v_add_f32_e32 v53, v57, v55
	v_mul_f32_e32 v99, 0x3e3c28d5, v98
	v_fmac_f32_e32 v91, 0x3f6eb680, v103
	s_delay_alu instid0(VALU_DEP_4) | instskip(SKIP_1) | instid1(VALU_DEP_3)
	v_dual_add_f32 v95, v96, v100 :: v_dual_sub_f32 v96, v55, v57
	v_mul_f32_e32 v55, 0xbf65296c, v98
	v_dual_add_f32 v57, v97, v101 :: v_dual_add_f32 v60, v91, v60
	s_delay_alu instid0(VALU_DEP_3) | instskip(SKIP_1) | instid1(VALU_DEP_2)
	v_mul_f32_e32 v56, 0xbf65296c, v96
	v_mul_f32_e32 v91, 0xbf4c4adb, v96
	v_fma_f32 v97, 0x3ee437d1, v54, -v56
	v_fmac_f32_e32 v56, 0x3ee437d1, v54
	s_delay_alu instid0(VALU_DEP_2) | instskip(NEXT) | instid1(VALU_DEP_2)
	v_add_f32_e32 v74, v97, v74
	v_add_f32_e32 v56, v56, v58
	v_mul_f32_e32 v58, 0x3e3c28d5, v96
	v_fmamk_f32 v61, v53, 0x3ee437d1, v55
	v_fma_f32 v55, 0x3ee437d1, v53, -v55
	v_mul_f32_e32 v97, 0xbf4c4adb, v98
	s_delay_alu instid0(VALU_DEP_3) | instskip(SKIP_1) | instid1(VALU_DEP_4)
	v_add_f32_e32 v61, v61, v71
	v_fma_f32 v71, 0xbf1a4643, v54, -v91
	v_add_f32_e32 v55, v55, v59
	s_delay_alu instid0(VALU_DEP_2) | instskip(SKIP_4) | instid1(VALU_DEP_4)
	v_add_f32_e32 v59, v71, v69
	v_fmamk_f32 v69, v53, 0xbf1a4643, v97
	v_fma_f32 v71, 0xbf1a4643, v53, -v97
	v_fma_f32 v97, 0xbf7ba420, v54, -v58
	v_fmac_f32_e32 v58, 0xbf7ba420, v54
	v_add_f32_e32 v68, v69, v68
	s_delay_alu instid0(VALU_DEP_2) | instskip(NEXT) | instid1(VALU_DEP_1)
	v_dual_add_f32 v58, v58, v75 :: v_dual_fmac_f32 v91, 0xbf1a4643, v54
	v_add_f32_e32 v69, v91, v70
	v_add_f32_e32 v70, v71, v76
	;; [unrolled: 1-line block ×3, first 2 shown]
	v_fmamk_f32 v76, v53, 0xbf7ba420, v99
	v_mul_f32_e32 v84, 0x3f763a35, v96
	v_fma_f32 v91, 0xbf7ba420, v53, -v99
	v_mul_f32_e32 v97, 0x3f763a35, v98
	s_delay_alu instid0(VALU_DEP_4) | instskip(NEXT) | instid1(VALU_DEP_4)
	v_dual_mul_f32 v99, 0xbeb8f4ab, v98 :: v_dual_add_f32 v76, v76, v77
	v_fma_f32 v77, 0xbe8c1d8e, v54, -v84
	v_fmac_f32_e32 v84, 0xbe8c1d8e, v54
	s_delay_alu instid0(VALU_DEP_4) | instskip(NEXT) | instid1(VALU_DEP_2)
	v_dual_add_f32 v75, v91, v78 :: v_dual_fmamk_f32 v78, v53, 0xbe8c1d8e, v97
	v_dual_add_f32 v67, v84, v67 :: v_dual_mul_f32 v84, 0xbeb8f4ab, v96
	s_delay_alu instid0(VALU_DEP_4) | instskip(SKIP_3) | instid1(VALU_DEP_3)
	v_add_f32_e32 v77, v77, v88
	v_fma_f32 v88, 0xbe8c1d8e, v53, -v97
	v_mul_f32_e32 v97, 0x3f2c7751, v98
	v_add_f32_e32 v78, v78, v86
	v_add_f32_e32 v80, v88, v80
	s_delay_alu instid0(VALU_DEP_3) | instskip(NEXT) | instid1(VALU_DEP_1)
	v_fma_f32 v88, 0x3f3d2fb0, v53, -v97
	v_dual_mul_f32 v91, 0x3f2c7751, v96 :: v_dual_add_f32 v82, v88, v82
	s_delay_alu instid0(VALU_DEP_1) | instskip(SKIP_3) | instid1(VALU_DEP_4)
	v_fma_f32 v86, 0x3f3d2fb0, v54, -v91
	v_fmac_f32_e32 v91, 0x3f3d2fb0, v54
	v_mul_f32_e32 v88, 0xbf7ee86f, v96
	v_mul_f32_e32 v96, 0xbf06c442, v96
	v_add_f32_e32 v66, v86, v66
	v_fmamk_f32 v86, v53, 0x3f3d2fb0, v97
	v_fma_f32 v97, 0x3f6eb680, v54, -v84
	v_dual_add_f32 v79, v91, v79 :: v_dual_fmac_f32 v84, 0x3f6eb680, v54
	v_mul_f32_e32 v91, 0xbf7ee86f, v98
	s_delay_alu instid0(VALU_DEP_3) | instskip(NEXT) | instid1(VALU_DEP_3)
	v_dual_add_f32 v81, v86, v81 :: v_dual_add_f32 v86, v97, v87
	v_dual_fmamk_f32 v87, v53, 0x3f6eb680, v99 :: v_dual_add_f32 v84, v84, v85
	s_delay_alu instid0(VALU_DEP_3) | instskip(SKIP_1) | instid1(VALU_DEP_3)
	v_fmamk_f32 v85, v53, 0x3dbcf732, v91
	v_fma_f32 v91, 0x3dbcf732, v53, -v91
	v_add_f32_e32 v83, v87, v83
	v_fma_f32 v87, 0x3dbcf732, v54, -v88
	s_delay_alu instid0(VALU_DEP_1) | instskip(SKIP_1) | instid1(VALU_DEP_2)
	v_dual_fmac_f32 v88, 0x3dbcf732, v54 :: v_dual_add_f32 v87, v87, v93
	v_fma_f32 v93, 0xbf59a7d5, v54, -v96
	v_dual_add_f32 v88, v88, v89 :: v_dual_sub_f32 v89, v45, v51
	v_fmac_f32_e32 v96, 0xbf59a7d5, v54
	v_add_f32_e32 v85, v85, v94
	v_dual_mul_f32 v94, 0xbf06c442, v98 :: v_dual_add_f32 v45, v51, v45
	v_dual_add_f32 v91, v91, v92 :: v_dual_add_f32 v92, v93, v95
	v_dual_add_f32 v95, v50, v44 :: v_dual_sub_f32 v44, v44, v50
	s_delay_alu instid0(VALU_DEP_3) | instskip(SKIP_1) | instid1(VALU_DEP_3)
	v_fma_f32 v50, 0xbf59a7d5, v53, -v94
	v_fmamk_f32 v93, v53, 0xbf59a7d5, v94
	v_mul_f32_e32 v94, 0x3eb8f4ab, v44
	s_delay_alu instid0(VALU_DEP_3) | instskip(SKIP_1) | instid1(VALU_DEP_4)
	v_add_f32_e32 v50, v50, v52
	v_fma_f32 v97, 0x3f6eb680, v53, -v99
	v_dual_mul_f32 v53, 0xbf7ee86f, v44 :: v_dual_add_f32 v54, v93, v57
	v_dual_add_f32 v57, v96, v60 :: v_dual_mul_f32 v60, 0xbe3c28d5, v89
	s_delay_alu instid0(VALU_DEP_3) | instskip(SKIP_1) | instid1(VALU_DEP_2)
	v_dual_add_f32 v90, v97, v90 :: v_dual_mul_f32 v97, 0xbf7ee86f, v89
	v_mul_f32_e32 v93, 0x3f763a35, v89
	v_fma_f32 v51, 0x3dbcf732, v95, -v97
	s_delay_alu instid0(VALU_DEP_1) | instskip(SKIP_2) | instid1(VALU_DEP_2)
	v_dual_add_f32 v51, v51, v74 :: v_dual_mul_f32 v74, 0xbe3c28d5, v44
	v_fmamk_f32 v52, v45, 0x3dbcf732, v53
	v_fma_f32 v53, 0x3dbcf732, v45, -v53
	v_add_f32_e32 v52, v52, v61
	v_fma_f32 v61, 0xbf7ba420, v95, -v60
	s_delay_alu instid0(VALU_DEP_3) | instskip(SKIP_1) | instid1(VALU_DEP_3)
	v_add_f32_e32 v53, v53, v55
	v_fmamk_f32 v55, v45, 0xbf7ba420, v74
	v_add_f32_e32 v59, v61, v59
	v_fma_f32 v61, 0xbf7ba420, v45, -v74
	v_mul_f32_e32 v74, 0x3f763a35, v44
	s_delay_alu instid0(VALU_DEP_4) | instskip(NEXT) | instid1(VALU_DEP_3)
	v_add_f32_e32 v55, v55, v68
	v_add_f32_e32 v61, v61, v70
	s_delay_alu instid0(VALU_DEP_3) | instskip(SKIP_2) | instid1(VALU_DEP_3)
	v_fmamk_f32 v70, v45, 0xbe8c1d8e, v74
	v_fma_f32 v68, 0xbe8c1d8e, v95, -v93
	v_fmac_f32_e32 v60, 0xbf7ba420, v95
	v_add_f32_e32 v70, v70, v76
	s_delay_alu instid0(VALU_DEP_3) | instskip(SKIP_2) | instid1(VALU_DEP_2)
	v_add_f32_e32 v68, v68, v71
	v_fma_f32 v71, 0xbe8c1d8e, v45, -v74
	v_mul_f32_e32 v76, 0xbf65296c, v89
	v_dual_add_f32 v60, v60, v69 :: v_dual_add_f32 v71, v71, v75
	v_fmamk_f32 v75, v45, 0x3f6eb680, v94
	s_delay_alu instid0(VALU_DEP_1) | instskip(NEXT) | instid1(VALU_DEP_4)
	v_add_f32_e32 v75, v75, v78
	v_fma_f32 v78, 0x3ee437d1, v95, -v76
	v_fmac_f32_e32 v76, 0x3ee437d1, v95
	s_delay_alu instid0(VALU_DEP_2) | instskip(NEXT) | instid1(VALU_DEP_2)
	v_add_f32_e32 v66, v78, v66
	v_add_f32_e32 v76, v76, v79
	v_fmac_f32_e32 v93, 0xbe8c1d8e, v95
	s_delay_alu instid0(VALU_DEP_1) | instskip(SKIP_1) | instid1(VALU_DEP_1)
	v_dual_mul_f32 v79, 0x3f4c4adb, v89 :: v_dual_add_f32 v58, v93, v58
	v_mul_f32_e32 v93, 0xbf65296c, v44
	v_fma_f32 v78, 0x3ee437d1, v45, -v93
	s_delay_alu instid0(VALU_DEP_1) | instskip(NEXT) | instid1(VALU_DEP_1)
	v_dual_mul_f32 v69, 0x3eb8f4ab, v89 :: v_dual_add_f32 v78, v78, v82
	v_fma_f32 v74, 0x3f6eb680, v95, -v69
	v_fmac_f32_e32 v97, 0x3dbcf732, v95
	s_delay_alu instid0(VALU_DEP_2) | instskip(SKIP_1) | instid1(VALU_DEP_2)
	v_dual_fmac_f32 v69, 0x3f6eb680, v95 :: v_dual_add_f32 v74, v74, v77
	v_fma_f32 v77, 0x3f6eb680, v45, -v94
	v_dual_add_f32 v67, v69, v67 :: v_dual_mul_f32 v94, 0x3f4c4adb, v44
	s_delay_alu instid0(VALU_DEP_4) | instskip(NEXT) | instid1(VALU_DEP_3)
	v_add_f32_e32 v56, v97, v56
	v_add_f32_e32 v69, v77, v80
	v_fmamk_f32 v77, v45, 0x3ee437d1, v93
	v_dual_mul_f32 v80, 0xbf06c442, v89 :: v_dual_mul_f32 v93, 0xbf06c442, v44
	s_delay_alu instid0(VALU_DEP_2) | instskip(NEXT) | instid1(VALU_DEP_2)
	v_dual_mul_f32 v44, 0x3f2c7751, v44 :: v_dual_add_f32 v77, v77, v81
	v_fma_f32 v81, 0xbf59a7d5, v95, -v80
	s_delay_alu instid0(VALU_DEP_3) | instskip(NEXT) | instid1(VALU_DEP_2)
	v_fmamk_f32 v82, v45, 0xbf59a7d5, v93
	v_dual_fmac_f32 v80, 0xbf59a7d5, v95 :: v_dual_add_f32 v81, v81, v86
	v_fma_f32 v86, 0xbf59a7d5, v45, -v93
	v_fma_f32 v93, 0xbf1a4643, v95, -v79
	s_delay_alu instid0(VALU_DEP_4) | instskip(NEXT) | instid1(VALU_DEP_3)
	v_add_f32_e32 v82, v82, v83
	v_dual_add_f32 v80, v80, v84 :: v_dual_add_f32 v83, v86, v90
	v_fmamk_f32 v86, v45, 0xbf1a4643, v94
	s_delay_alu instid0(VALU_DEP_4)
	v_add_f32_e32 v84, v93, v87
	v_fmac_f32_e32 v79, 0xbf1a4643, v95
	v_fmamk_f32 v90, v45, 0x3f3d2fb0, v44
	v_fma_f32 v44, 0x3f3d2fb0, v45, -v44
	v_mul_f32_e32 v87, 0x3f2c7751, v89
	v_fma_f32 v89, 0xbf1a4643, v45, -v94
	v_add_f32_e32 v85, v86, v85
	v_dual_add_f32 v79, v79, v88 :: v_dual_add_f32 v54, v90, v54
	v_add_f32_e32 v90, v48, v46
	s_delay_alu instid0(VALU_DEP_4) | instskip(SKIP_3) | instid1(VALU_DEP_4)
	v_dual_add_f32 v88, v89, v91 :: v_dual_sub_f32 v89, v47, v49
	v_dual_sub_f32 v46, v46, v48 :: v_dual_add_f32 v45, v49, v47
	v_add_f32_e32 v44, v44, v50
	v_fma_f32 v86, 0x3f3d2fb0, v95, -v87
	v_mul_f32_e32 v48, 0xbf763a35, v89
	s_delay_alu instid0(VALU_DEP_2) | instskip(NEXT) | instid1(VALU_DEP_2)
	v_add_f32_e32 v86, v86, v92
	v_fma_f32 v49, 0xbe8c1d8e, v90, -v48
	v_fmac_f32_e32 v48, 0xbe8c1d8e, v90
	v_mul_f32_e32 v50, 0x3f06c442, v89
	v_fmac_f32_e32 v87, 0x3f3d2fb0, v95
	s_delay_alu instid0(VALU_DEP_3) | instskip(NEXT) | instid1(VALU_DEP_3)
	v_dual_add_f32 v49, v49, v51 :: v_dual_add_f32 v48, v48, v56
	v_fma_f32 v51, 0xbf59a7d5, v90, -v50
	v_fmac_f32_e32 v50, 0xbf59a7d5, v90
	v_mul_f32_e32 v47, 0xbf763a35, v46
	v_add_f32_e32 v57, v87, v57
	s_delay_alu instid0(VALU_DEP_3) | instskip(NEXT) | instid1(VALU_DEP_3)
	v_dual_add_f32 v51, v51, v59 :: v_dual_add_f32 v50, v50, v60
	v_fmamk_f32 v87, v45, 0xbe8c1d8e, v47
	v_fma_f32 v47, 0xbe8c1d8e, v45, -v47
	s_delay_alu instid0(VALU_DEP_2) | instskip(NEXT) | instid1(VALU_DEP_2)
	v_add_f32_e32 v52, v87, v52
	v_add_f32_e32 v47, v47, v53
	v_mul_f32_e32 v53, 0x3f2c7751, v89
	s_delay_alu instid0(VALU_DEP_1) | instskip(SKIP_1) | instid1(VALU_DEP_2)
	v_fma_f32 v91, 0x3f3d2fb0, v90, -v53
	v_mul_f32_e32 v87, 0x3f06c442, v46
	v_dual_fmac_f32 v53, 0x3f3d2fb0, v90 :: v_dual_add_f32 v60, v91, v68
	s_delay_alu instid0(VALU_DEP_2) | instskip(SKIP_2) | instid1(VALU_DEP_4)
	v_fmamk_f32 v56, v45, 0xbf59a7d5, v87
	v_fma_f32 v59, 0xbf59a7d5, v45, -v87
	v_mul_f32_e32 v87, 0x3f2c7751, v46
	v_add_f32_e32 v53, v53, v58
	s_delay_alu instid0(VALU_DEP_3) | instskip(SKIP_1) | instid1(VALU_DEP_4)
	v_dual_add_f32 v55, v56, v55 :: v_dual_add_f32 v56, v59, v61
	v_mul_f32_e32 v61, 0xbf65296c, v89
	v_fma_f32 v68, 0x3f3d2fb0, v45, -v87
	v_fmamk_f32 v59, v45, 0x3f3d2fb0, v87
	s_delay_alu instid0(VALU_DEP_3) | instskip(NEXT) | instid1(VALU_DEP_3)
	v_fma_f32 v87, 0x3ee437d1, v90, -v61
	v_add_f32_e32 v58, v68, v71
	v_mul_f32_e32 v68, 0xbe3c28d5, v89
	s_delay_alu instid0(VALU_DEP_3) | instskip(NEXT) | instid1(VALU_DEP_2)
	v_add_f32_e32 v74, v87, v74
	v_fma_f32 v87, 0xbf7ba420, v90, -v68
	v_fmac_f32_e32 v68, 0xbf7ba420, v90
	s_delay_alu instid0(VALU_DEP_2) | instskip(SKIP_2) | instid1(VALU_DEP_4)
	v_add_f32_e32 v66, v87, v66
	v_add_f32_e32 v59, v59, v70
	v_mul_f32_e32 v70, 0xbf65296c, v46
	v_dual_mul_f32 v87, 0x3f7ee86f, v46 :: v_dual_add_f32 v68, v68, v76
	v_fmac_f32_e32 v61, 0x3ee437d1, v90
	s_delay_alu instid0(VALU_DEP_2) | instskip(NEXT) | instid1(VALU_DEP_4)
	v_fmamk_f32 v76, v45, 0x3dbcf732, v87
	v_fmamk_f32 v71, v45, 0x3ee437d1, v70
	v_fma_f32 v70, 0x3ee437d1, v45, -v70
	s_delay_alu instid0(VALU_DEP_3) | instskip(NEXT) | instid1(VALU_DEP_3)
	v_dual_add_f32 v61, v61, v67 :: v_dual_add_f32 v76, v76, v82
	v_dual_add_f32 v71, v71, v75 :: v_dual_mul_f32 v82, 0xbeb8f4ab, v46
	v_mul_f32_e32 v75, 0xbe3c28d5, v46
	s_delay_alu instid0(VALU_DEP_4) | instskip(SKIP_1) | instid1(VALU_DEP_3)
	v_dual_add_f32 v67, v70, v69 :: v_dual_mul_f32 v46, 0xbf4c4adb, v46
	v_mul_f32_e32 v69, 0x3f7ee86f, v89
	v_fmamk_f32 v70, v45, 0xbf7ba420, v75
	v_fma_f32 v75, 0xbf7ba420, v45, -v75
	s_delay_alu instid0(VALU_DEP_3) | instskip(NEXT) | instid1(VALU_DEP_3)
	v_fma_f32 v91, 0x3dbcf732, v90, -v69
	v_dual_fmac_f32 v69, 0x3dbcf732, v90 :: v_dual_add_f32 v70, v70, v77
	s_delay_alu instid0(VALU_DEP_3) | instskip(NEXT) | instid1(VALU_DEP_3)
	v_dual_add_f32 v75, v75, v78 :: v_dual_mul_f32 v78, 0xbeb8f4ab, v89
	v_add_f32_e32 v77, v91, v81
	v_fma_f32 v81, 0x3dbcf732, v45, -v87
	s_delay_alu instid0(VALU_DEP_4) | instskip(NEXT) | instid1(VALU_DEP_4)
	v_add_f32_e32 v69, v69, v80
	v_fma_f32 v87, 0x3f6eb680, v90, -v78
	v_fmac_f32_e32 v78, 0x3f6eb680, v90
	s_delay_alu instid0(VALU_DEP_4) | instskip(NEXT) | instid1(VALU_DEP_3)
	v_dual_add_f32 v80, v81, v83 :: v_dual_mul_f32 v81, 0xbf4c4adb, v89
	v_dual_fmamk_f32 v83, v45, 0x3f6eb680, v82 :: v_dual_add_f32 v84, v87, v84
	v_fma_f32 v82, 0x3f6eb680, v45, -v82
	s_delay_alu instid0(VALU_DEP_4) | instskip(NEXT) | instid1(VALU_DEP_4)
	v_add_f32_e32 v78, v78, v79
	v_fma_f32 v87, 0xbf1a4643, v90, -v81
	s_delay_alu instid0(VALU_DEP_4) | instskip(NEXT) | instid1(VALU_DEP_2)
	v_add_f32_e32 v83, v83, v85
	v_dual_add_f32 v79, v82, v88 :: v_dual_add_f32 v82, v87, v86
	v_dual_fmamk_f32 v86, v45, 0xbf1a4643, v46 :: v_dual_sub_f32 v87, v36, v42
	v_dual_add_f32 v36, v42, v36 :: v_dual_sub_f32 v85, v37, v43
	v_fma_f32 v45, 0xbf1a4643, v45, -v46
	v_add_f32_e32 v37, v43, v37
	s_delay_alu instid0(VALU_DEP_4) | instskip(SKIP_3) | instid1(VALU_DEP_4)
	v_dual_mul_f32 v43, 0xbf4c4adb, v87 :: v_dual_add_f32 v46, v86, v54
	v_fmac_f32_e32 v81, 0xbf1a4643, v90
	v_mul_f32_e32 v42, 0xbf4c4adb, v85
	v_add_f32_e32 v44, v45, v44
	v_fmamk_f32 v45, v37, 0xbf1a4643, v43
	v_add_f32_e32 v90, v65, v3
	v_add_f32_e32 v57, v81, v57
	v_fma_f32 v54, 0xbf1a4643, v36, -v42
	v_fmac_f32_e32 v42, 0xbf1a4643, v36
	v_mul_f32_e32 v81, 0x3f763a35, v85
	v_add_f32_e32 v45, v45, v52
	s_delay_alu instid0(VALU_DEP_4) | instskip(NEXT) | instid1(VALU_DEP_3)
	v_dual_add_f32 v49, v54, v49 :: v_dual_mul_f32 v54, 0x3f763a35, v87
	v_fma_f32 v52, 0xbe8c1d8e, v36, -v81
	v_fmac_f32_e32 v81, 0xbe8c1d8e, v36
	v_add_f32_e32 v42, v42, v48
	s_delay_alu instid0(VALU_DEP_3) | instskip(NEXT) | instid1(VALU_DEP_3)
	v_add_f32_e32 v48, v52, v51
	v_add_f32_e32 v50, v81, v50
	v_fma_f32 v43, 0xbf1a4643, v37, -v43
	v_fmamk_f32 v51, v37, 0xbe8c1d8e, v54
	v_fma_f32 v52, 0xbe8c1d8e, v37, -v54
	s_delay_alu instid0(VALU_DEP_3) | instskip(NEXT) | instid1(VALU_DEP_2)
	v_add_f32_e32 v43, v43, v47
	v_dual_mul_f32 v47, 0xbeb8f4ab, v85 :: v_dual_add_f32 v52, v52, v56
	s_delay_alu instid0(VALU_DEP_4) | instskip(NEXT) | instid1(VALU_DEP_2)
	v_dual_mul_f32 v56, 0xbf06c442, v85 :: v_dual_add_f32 v51, v51, v55
	v_fma_f32 v54, 0x3f6eb680, v36, -v47
	v_fmac_f32_e32 v47, 0x3f6eb680, v36
	s_delay_alu instid0(VALU_DEP_2) | instskip(SKIP_2) | instid1(VALU_DEP_4)
	v_add_f32_e32 v54, v54, v60
	v_mul_f32_e32 v86, 0xbeb8f4ab, v87
	v_mul_f32_e32 v81, 0xbf06c442, v87
	v_add_f32_e32 v47, v47, v53
	s_delay_alu instid0(VALU_DEP_3) | instskip(NEXT) | instid1(VALU_DEP_1)
	v_fma_f32 v60, 0x3f6eb680, v37, -v86
	v_dual_add_f32 v53, v60, v58 :: v_dual_fmamk_f32 v58, v37, 0xbf59a7d5, v81
	v_mul_f32_e32 v60, 0x3f7ee86f, v85
	s_delay_alu instid0(VALU_DEP_2) | instskip(NEXT) | instid1(VALU_DEP_2)
	v_add_f32_e32 v58, v58, v71
	v_fma_f32 v71, 0x3dbcf732, v36, -v60
	v_fmac_f32_e32 v60, 0x3dbcf732, v36
	v_fmamk_f32 v55, v37, 0x3f6eb680, v86
	v_mul_f32_e32 v86, 0xbf2c7751, v87
	s_delay_alu instid0(VALU_DEP_4) | instskip(NEXT) | instid1(VALU_DEP_3)
	v_add_f32_e32 v66, v71, v66
	v_dual_add_f32 v60, v60, v68 :: v_dual_add_f32 v55, v55, v59
	v_fma_f32 v59, 0xbf59a7d5, v36, -v56
	s_delay_alu instid0(VALU_DEP_1) | instskip(SKIP_1) | instid1(VALU_DEP_2)
	v_dual_fmac_f32 v56, 0xbf59a7d5, v36 :: v_dual_add_f32 v59, v59, v74
	v_fma_f32 v74, 0xbf59a7d5, v37, -v81
	v_dual_mul_f32 v81, 0x3f7ee86f, v87 :: v_dual_add_f32 v56, v56, v61
	s_delay_alu instid0(VALU_DEP_2) | instskip(NEXT) | instid1(VALU_DEP_2)
	v_add_f32_e32 v61, v74, v67
	v_fma_f32 v74, 0x3dbcf732, v37, -v81
	s_delay_alu instid0(VALU_DEP_1) | instskip(SKIP_1) | instid1(VALU_DEP_1)
	v_dual_mul_f32 v67, 0xbf2c7751, v85 :: v_dual_add_f32 v68, v74, v75
	v_fmamk_f32 v74, v37, 0x3f3d2fb0, v86
	v_dual_mul_f32 v75, 0xbe3c28d5, v85 :: v_dual_add_f32 v74, v74, v76
	s_delay_alu instid0(VALU_DEP_1) | instskip(SKIP_1) | instid1(VALU_DEP_2)
	v_fma_f32 v76, 0xbf7ba420, v36, -v75
	v_fmac_f32_e32 v75, 0xbf7ba420, v36
	v_dual_add_f32 v76, v76, v84 :: v_dual_fmamk_f32 v71, v37, 0x3dbcf732, v81
	v_fma_f32 v81, 0x3f3d2fb0, v36, -v67
	v_fmac_f32_e32 v67, 0x3f3d2fb0, v36
	s_delay_alu instid0(VALU_DEP_4) | instskip(NEXT) | instid1(VALU_DEP_3)
	v_dual_mul_f32 v84, 0x3f65296c, v87 :: v_dual_add_f32 v75, v75, v78
	v_dual_add_f32 v70, v71, v70 :: v_dual_add_f32 v71, v81, v77
	v_fma_f32 v77, 0x3f3d2fb0, v37, -v86
	v_mul_f32_e32 v81, 0xbe3c28d5, v87
	v_add_f32_e32 v67, v67, v69
	v_add_f32_e32 v87, v64, v2
	s_delay_alu instid0(VALU_DEP_4) | instskip(NEXT) | instid1(VALU_DEP_4)
	v_add_f32_e32 v69, v77, v80
	v_fmamk_f32 v77, v37, 0xbf7ba420, v81
	v_mul_f32_e32 v80, 0x3f65296c, v85
	v_fma_f32 v81, 0xbf7ba420, v37, -v81
	s_delay_alu instid0(VALU_DEP_3) | instskip(NEXT) | instid1(VALU_DEP_3)
	v_add_f32_e32 v77, v77, v83
	v_fma_f32 v83, 0x3ee437d1, v36, -v80
	v_fmac_f32_e32 v80, 0x3ee437d1, v36
	s_delay_alu instid0(VALU_DEP_4) | instskip(SKIP_1) | instid1(VALU_DEP_4)
	v_dual_add_f32 v78, v81, v79 :: v_dual_sub_f32 v79, v39, v41
	v_fma_f32 v36, 0x3ee437d1, v37, -v84
	v_dual_add_f32 v81, v83, v82 :: v_dual_fmamk_f32 v82, v37, 0x3ee437d1, v84
	v_add_f32_e32 v37, v41, v39
	v_dual_add_f32 v83, v40, v38 :: v_dual_sub_f32 v38, v38, v40
	v_mul_f32_e32 v40, 0xbf06c442, v79
	v_add_f32_e32 v36, v36, v44
	v_dual_add_f32 v57, v80, v57 :: v_dual_add_f32 v46, v82, v46
	s_delay_alu instid0(VALU_DEP_4) | instskip(NEXT) | instid1(VALU_DEP_4)
	v_mul_f32_e32 v39, 0xbf06c442, v38
	v_fma_f32 v41, 0xbf59a7d5, v83, -v40
	v_fmac_f32_e32 v40, 0xbf59a7d5, v83
	s_delay_alu instid0(VALU_DEP_3) | instskip(NEXT) | instid1(VALU_DEP_3)
	v_fmamk_f32 v44, v37, 0xbf59a7d5, v39
	v_add_f32_e32 v41, v41, v49
	v_mul_f32_e32 v49, 0x3f65296c, v79
	v_fma_f32 v39, 0xbf59a7d5, v37, -v39
	v_add_f32_e32 v42, v40, v42
	v_dual_add_f32 v44, v44, v45 :: v_dual_mul_f32 v45, 0x3f65296c, v38
	s_delay_alu instid0(VALU_DEP_4) | instskip(NEXT) | instid1(VALU_DEP_4)
	v_fma_f32 v80, 0x3ee437d1, v83, -v49
	v_add_f32_e32 v39, v39, v43
	v_fmac_f32_e32 v49, 0x3ee437d1, v83
	s_delay_alu instid0(VALU_DEP_4) | instskip(SKIP_1) | instid1(VALU_DEP_3)
	v_fmamk_f32 v43, v37, 0x3ee437d1, v45
	v_fma_f32 v45, 0x3ee437d1, v37, -v45
	v_dual_add_f32 v48, v80, v48 :: v_dual_add_f32 v49, v49, v50
	s_delay_alu instid0(VALU_DEP_2) | instskip(SKIP_2) | instid1(VALU_DEP_2)
	v_dual_add_f32 v43, v43, v51 :: v_dual_add_f32 v50, v45, v52
	v_dual_mul_f32 v40, 0xbf7ee86f, v79 :: v_dual_mul_f32 v51, 0xbf7ee86f, v38
	v_mul_f32_e32 v45, 0x3f4c4adb, v79
	v_fma_f32 v80, 0x3dbcf732, v83, -v40
	s_delay_alu instid0(VALU_DEP_1)
	v_add_f32_e32 v52, v80, v54
	v_mul_f32_e32 v80, 0x3f4c4adb, v38
	v_fmamk_f32 v54, v37, 0x3dbcf732, v51
	v_fmac_f32_e32 v40, 0x3dbcf732, v83
	v_fma_f32 v51, 0x3dbcf732, v37, -v51
	v_fma_f32 v82, 0xbf1a4643, v83, -v45
	s_delay_alu instid0(VALU_DEP_4) | instskip(NEXT) | instid1(VALU_DEP_4)
	v_add_f32_e32 v54, v54, v55
	v_dual_add_f32 v47, v40, v47 :: v_dual_fmamk_f32 v40, v37, 0xbf1a4643, v80
	s_delay_alu instid0(VALU_DEP_4) | instskip(NEXT) | instid1(VALU_DEP_4)
	v_add_f32_e32 v51, v51, v53
	v_add_f32_e32 v53, v82, v59
	v_fma_f32 v59, 0xbf1a4643, v37, -v80
	s_delay_alu instid0(VALU_DEP_4) | instskip(NEXT) | instid1(VALU_DEP_2)
	v_dual_mul_f32 v55, 0xbeb8f4ab, v79 :: v_dual_add_f32 v58, v40, v58
	v_dual_mul_f32 v40, 0xbeb8f4ab, v38 :: v_dual_add_f32 v59, v59, v61
	s_delay_alu instid0(VALU_DEP_2) | instskip(SKIP_1) | instid1(VALU_DEP_3)
	v_fma_f32 v80, 0x3f6eb680, v83, -v55
	v_fmac_f32_e32 v55, 0x3f6eb680, v83
	v_fmamk_f32 v61, v37, 0x3f6eb680, v40
	v_fma_f32 v40, 0x3f6eb680, v37, -v40
	s_delay_alu instid0(VALU_DEP_4) | instskip(NEXT) | instid1(VALU_DEP_3)
	v_add_f32_e32 v66, v80, v66
	v_dual_add_f32 v60, v55, v60 :: v_dual_add_f32 v61, v61, v70
	v_mul_f32_e32 v70, 0xbe3c28d5, v38
	s_delay_alu instid0(VALU_DEP_4) | instskip(SKIP_1) | instid1(VALU_DEP_3)
	v_add_f32_e32 v68, v40, v68
	v_mul_f32_e32 v40, 0x3f2c7751, v79
	v_fmamk_f32 v55, v37, 0xbf7ba420, v70
	v_fma_f32 v70, 0xbf7ba420, v37, -v70
	s_delay_alu instid0(VALU_DEP_3) | instskip(SKIP_1) | instid1(VALU_DEP_4)
	v_fma_f32 v82, 0x3f3d2fb0, v83, -v40
	v_fmac_f32_e32 v40, 0x3f3d2fb0, v83
	v_dual_add_f32 v74, v55, v74 :: v_dual_fmac_f32 v45, 0xbf1a4643, v83
	s_delay_alu instid0(VALU_DEP_1) | instskip(SKIP_1) | instid1(VALU_DEP_1)
	v_dual_mul_f32 v55, 0xbf763a35, v79 :: v_dual_add_f32 v56, v45, v56
	v_mul_f32_e32 v45, 0xbe3c28d5, v79
	v_fma_f32 v80, 0xbf7ba420, v83, -v45
	v_fmac_f32_e32 v45, 0xbf7ba420, v83
	s_delay_alu instid0(VALU_DEP_2) | instskip(NEXT) | instid1(VALU_DEP_2)
	v_dual_add_f32 v71, v80, v71 :: v_dual_mul_f32 v80, 0x3f2c7751, v38
	v_dual_mul_f32 v38, 0xbf763a35, v38 :: v_dual_add_f32 v67, v45, v67
	v_add_f32_e32 v69, v70, v69
	s_delay_alu instid0(VALU_DEP_3) | instskip(NEXT) | instid1(VALU_DEP_1)
	v_dual_add_f32 v70, v82, v76 :: v_dual_fmamk_f32 v45, v37, 0x3f3d2fb0, v80
	v_add_f32_e32 v76, v45, v77
	v_fma_f32 v45, 0x3f3d2fb0, v37, -v80
	v_dual_add_f32 v80, v30, v28 :: v_dual_sub_f32 v79, v29, v31
	v_sub_f32_e32 v28, v28, v30
	v_fma_f32 v30, 0xbe8c1d8e, v37, -v38
	s_delay_alu instid0(VALU_DEP_4) | instskip(NEXT) | instid1(VALU_DEP_4)
	v_dual_add_f32 v78, v45, v78 :: v_dual_add_f32 v29, v31, v29
	v_mul_f32_e32 v45, 0xbe3c28d5, v79
	s_delay_alu instid0(VALU_DEP_4) | instskip(SKIP_2) | instid1(VALU_DEP_4)
	v_mul_f32_e32 v31, 0xbe3c28d5, v28
	v_fma_f32 v77, 0xbe8c1d8e, v83, -v55
	v_dual_add_f32 v75, v40, v75 :: v_dual_fmamk_f32 v40, v37, 0xbe8c1d8e, v38
	v_fma_f32 v37, 0xbf7ba420, v80, -v45
	v_add_f32_e32 v30, v30, v36
	v_fmamk_f32 v36, v29, 0xbf7ba420, v31
	v_fmac_f32_e32 v45, 0xbf7ba420, v80
	v_add_f32_e32 v77, v77, v81
	v_dual_add_f32 v81, v40, v46 :: v_dual_add_f32 v40, v37, v41
	v_mul_f32_e32 v38, 0x3eb8f4ab, v79
	v_fma_f32 v31, 0xbf7ba420, v29, -v31
	v_mul_f32_e32 v46, 0x3eb8f4ab, v28
	v_dual_add_f32 v41, v36, v44 :: v_dual_add_f32 v36, v45, v42
	v_fmac_f32_e32 v55, 0xbe8c1d8e, v83
	s_delay_alu instid0(VALU_DEP_4) | instskip(NEXT) | instid1(VALU_DEP_2)
	v_add_f32_e32 v37, v31, v39
	v_dual_fmamk_f32 v31, v29, 0x3f6eb680, v46 :: v_dual_add_f32 v82, v55, v57
	v_fma_f32 v55, 0x3f6eb680, v80, -v38
	v_fmac_f32_e32 v38, 0x3f6eb680, v80
	v_mul_f32_e32 v42, 0xbf06c442, v79
	s_delay_alu instid0(VALU_DEP_4)
	v_add_f32_e32 v45, v31, v43
	v_mul_f32_e32 v31, 0xbf06c442, v28
	v_add_f32_e32 v44, v55, v48
	v_add_f32_e32 v38, v38, v49
	v_fma_f32 v43, 0xbf59a7d5, v80, -v42
	v_fmac_f32_e32 v42, 0xbf59a7d5, v80
	v_fma_f32 v39, 0x3f6eb680, v29, -v46
	v_mul_f32_e32 v46, 0x3f2c7751, v79
	s_delay_alu instid0(VALU_DEP_4) | instskip(SKIP_1) | instid1(VALU_DEP_4)
	v_dual_fmamk_f32 v49, v29, 0xbf59a7d5, v31 :: v_dual_add_f32 v48, v43, v52
	v_fma_f32 v31, 0xbf59a7d5, v29, -v31
	v_add_f32_e32 v39, v39, v50
	s_delay_alu instid0(VALU_DEP_4) | instskip(SKIP_3) | instid1(VALU_DEP_4)
	v_fma_f32 v50, 0x3f3d2fb0, v80, -v46
	v_mul_f32_e32 v52, 0x3f2c7751, v28
	v_add_f32_e32 v42, v42, v47
	v_add_f32_e32 v43, v31, v51
	v_dual_mul_f32 v31, 0xbf4c4adb, v79 :: v_dual_add_f32 v50, v50, v53
	s_delay_alu instid0(VALU_DEP_4) | instskip(SKIP_3) | instid1(VALU_DEP_3)
	v_fmamk_f32 v47, v29, 0x3f3d2fb0, v52
	v_fmac_f32_e32 v46, 0x3f3d2fb0, v80
	v_fma_f32 v52, 0x3f3d2fb0, v29, -v52
	v_mul_f32_e32 v53, 0xbf4c4adb, v28
	v_dual_add_f32 v51, v47, v58 :: v_dual_add_f32 v46, v46, v56
	s_delay_alu instid0(VALU_DEP_2) | instskip(SKIP_3) | instid1(VALU_DEP_4)
	v_dual_add_f32 v47, v52, v59 :: v_dual_fmamk_f32 v52, v29, 0xbf1a4643, v53
	v_dual_mul_f32 v56, 0x3f65296c, v79 :: v_dual_add_f32 v49, v49, v54
	v_fma_f32 v54, 0xbf1a4643, v80, -v31
	v_fmac_f32_e32 v31, 0xbf1a4643, v80
	v_add_f32_e32 v55, v52, v61
	v_fma_f32 v53, 0xbf1a4643, v29, -v53
	s_delay_alu instid0(VALU_DEP_4) | instskip(NEXT) | instid1(VALU_DEP_4)
	v_dual_mul_f32 v61, 0xbf763a35, v28 :: v_dual_add_f32 v54, v54, v66
	v_dual_add_f32 v52, v31, v60 :: v_dual_mul_f32 v31, 0xbf763a35, v79
	s_delay_alu instid0(VALU_DEP_3) | instskip(SKIP_2) | instid1(VALU_DEP_4)
	v_add_f32_e32 v53, v53, v68
	v_fma_f32 v58, 0x3ee437d1, v80, -v56
	v_fmac_f32_e32 v56, 0x3ee437d1, v80
	v_fma_f32 v60, 0xbe8c1d8e, v80, -v31
	s_delay_alu instid0(VALU_DEP_3) | instskip(NEXT) | instid1(VALU_DEP_3)
	v_add_f32_e32 v58, v58, v71
	v_add_f32_e32 v56, v56, v67
	s_delay_alu instid0(VALU_DEP_3) | instskip(SKIP_3) | instid1(VALU_DEP_3)
	v_add_f32_e32 v68, v60, v70
	v_mul_f32_e32 v70, 0x3f7ee86f, v79
	v_fmamk_f32 v60, v29, 0xbe8c1d8e, v61
	v_fma_f32 v61, 0xbe8c1d8e, v29, -v61
	v_fma_f32 v66, 0x3dbcf732, v80, -v70
	v_fmac_f32_e32 v70, 0x3dbcf732, v80
	v_mul_f32_e32 v57, 0x3f65296c, v28
	s_delay_alu instid0(VALU_DEP_4) | instskip(NEXT) | instid1(VALU_DEP_4)
	v_dual_add_f32 v61, v61, v78 :: v_dual_mul_f32 v28, 0x3f7ee86f, v28
	v_add_f32_e32 v66, v66, v77
	s_delay_alu instid0(VALU_DEP_3) | instskip(SKIP_1) | instid1(VALU_DEP_4)
	v_dual_add_f32 v70, v70, v82 :: v_dual_fmamk_f32 v59, v29, 0x3ee437d1, v57
	v_fma_f32 v57, 0x3ee437d1, v29, -v57
	v_fmamk_f32 v67, v29, 0x3dbcf732, v28
	v_fma_f32 v28, 0x3dbcf732, v29, -v28
	s_delay_alu instid0(VALU_DEP_4) | instskip(NEXT) | instid1(VALU_DEP_4)
	v_dual_add_f32 v59, v59, v74 :: v_dual_sub_f32 v74, v2, v64
	v_add_f32_e32 v57, v57, v69
	s_delay_alu instid0(VALU_DEP_2)
	v_dual_add_f32 v69, v60, v76 :: v_dual_mul_f32 v94, 0xbf2c7751, v74
	v_mul_f32_e32 v101, 0xbf7ee86f, v74
	v_mul_f32_e32 v98, 0xbf65296c, v74
	v_mul_f32_e32 v106, 0xbf763a35, v74
	v_mul_f32_e32 v89, 0xbeb8f4ab, v74
	v_mul_f32_e32 v108, 0xbf4c4adb, v74
	v_fma_f32 v78, 0x3dbcf732, v90, -v101
	v_fmac_f32_e32 v31, 0xbe8c1d8e, v80
	v_fma_f32 v79, 0xbe8c1d8e, v90, -v106
	v_fma_f32 v77, 0x3ee437d1, v90, -v98
	s_delay_alu instid0(VALU_DEP_4) | instskip(NEXT) | instid1(VALU_DEP_4)
	v_add_f32_e32 v84, v78, v1
	v_add_f32_e32 v60, v31, v75
	v_sub_f32_e32 v31, v3, v65
	v_add_f32_e32 v93, v79, v1
	v_fma_f32 v75, 0x3f6eb680, v90, -v89
	s_delay_alu instid0(VALU_DEP_3) | instskip(SKIP_3) | instid1(VALU_DEP_4)
	v_dual_add_f32 v77, v77, v1 :: v_dual_mul_f32 v92, 0xbf2c7751, v31
	v_dual_mul_f32 v96, 0xbf65296c, v31 :: v_dual_add_f32 v71, v28, v30
	v_mul_f32_e32 v78, 0xbf06c442, v31
	v_mul_f32_e32 v85, 0xbeb8f4ab, v31
	v_fmamk_f32 v76, v87, 0x3f3d2fb0, v92
	v_mul_f32_e32 v103, 0xbf763a35, v31
	v_mul_f32_e32 v107, 0xbf4c4adb, v31
	v_fma_f32 v83, 0xbf59a7d5, v87, -v78
	s_delay_alu instid0(VALU_DEP_4) | instskip(SKIP_2) | instid1(VALU_DEP_4)
	v_dual_mul_f32 v99, 0xbf7ee86f, v31 :: v_dual_add_f32 v30, v76, v0
	v_fmamk_f32 v76, v87, 0x3ee437d1, v96
	v_fmac_f32_e32 v78, 0xbf59a7d5, v87
	v_dual_add_f32 v100, v83, v0 :: v_dual_mul_f32 v83, 0xbe3c28d5, v74
	s_delay_alu instid0(VALU_DEP_3) | instskip(NEXT) | instid1(VALU_DEP_3)
	v_dual_add_f32 v76, v76, v0 :: v_dual_add_f32 v67, v67, v81
	v_dual_mul_f32 v79, 0xbf06c442, v74 :: v_dual_add_f32 v104, v78, v0
	s_delay_alu instid0(VALU_DEP_3) | instskip(NEXT) | instid1(VALU_DEP_2)
	v_fma_f32 v78, 0xbf7ba420, v90, -v83
	v_fmamk_f32 v74, v90, 0xbf59a7d5, v79
	s_delay_alu instid0(VALU_DEP_2) | instskip(SKIP_1) | instid1(VALU_DEP_3)
	v_dual_fmamk_f32 v29, v87, 0x3f6eb680, v85 :: v_dual_add_f32 v154, v78, v1
	v_mul_f32_e32 v78, 0xbe3c28d5, v152
	v_add_f32_e32 v102, v74, v1
	s_delay_alu instid0(VALU_DEP_3) | instskip(SKIP_2) | instid1(VALU_DEP_2)
	v_dual_add_f32 v28, v29, v0 :: v_dual_add_f32 v29, v75, v1
	v_fma_f32 v75, 0x3f3d2fb0, v90, -v94
	v_dual_mul_f32 v31, 0xbe3c28d5, v31 :: v_dual_add_f32 v74, v14, v32
	v_dual_sub_f32 v153, v32, v14 :: v_dual_add_f32 v80, v75, v1
	v_fmamk_f32 v75, v87, 0x3dbcf732, v99
	s_delay_alu instid0(VALU_DEP_3) | instskip(NEXT) | instid1(VALU_DEP_2)
	v_fmamk_f32 v156, v74, 0xbf7ba420, v78
	v_add_f32_e32 v82, v75, v0
	s_delay_alu instid0(VALU_DEP_1) | instskip(NEXT) | instid1(VALU_DEP_1)
	v_dual_fmamk_f32 v75, v87, 0xbe8c1d8e, v103 :: v_dual_add_f32 v156, v156, v82
	v_add_f32_e32 v88, v75, v0
	v_fma_f32 v75, 0xbf1a4643, v90, -v108
	s_delay_alu instid0(VALU_DEP_1) | instskip(SKIP_2) | instid1(VALU_DEP_3)
	v_dual_mul_f32 v82, 0x3f65296c, v152 :: v_dual_add_f32 v97, v75, v1
	v_fma_f32 v75, 0xbf59a7d5, v90, -v79
	v_fma_f32 v79, 0xbf7ba420, v87, -v31
	;; [unrolled: 1-line block ×3, first 2 shown]
	v_fmac_f32_e32 v82, 0x3ee437d1, v74
	s_delay_alu instid0(VALU_DEP_4) | instskip(NEXT) | instid1(VALU_DEP_4)
	v_add_f32_e32 v110, v75, v1
	v_add_f32_e32 v150, v79, v0
	v_fmamk_f32 v81, v87, 0xbf1a4643, v107
	v_add_f32_e32 v75, v15, v33
	s_delay_alu instid0(VALU_DEP_2) | instskip(SKIP_2) | instid1(VALU_DEP_2)
	v_add_f32_e32 v95, v81, v0
	v_fmamk_f32 v81, v90, 0xbf7ba420, v83
	v_mul_f32_e32 v83, 0xbf7ee86f, v153
	v_add_f32_e32 v151, v81, v1
	v_mul_f32_e32 v81, 0xbf7ee86f, v152
	s_delay_alu instid0(VALU_DEP_3) | instskip(NEXT) | instid1(VALU_DEP_2)
	v_fma_f32 v105, 0x3dbcf732, v75, -v83
	v_fmamk_f32 v91, v74, 0x3dbcf732, v81
	s_delay_alu instid0(VALU_DEP_1) | instskip(SKIP_2) | instid1(VALU_DEP_2)
	v_dual_add_f32 v155, v105, v80 :: v_dual_add_f32 v30, v91, v30
	v_mul_f32_e32 v91, 0xbf4c4adb, v153
	v_mul_f32_e32 v105, 0x3f06c442, v152
	v_fma_f32 v80, 0xbf1a4643, v75, -v91
	s_delay_alu instid0(VALU_DEP_1) | instskip(SKIP_1) | instid1(VALU_DEP_2)
	v_dual_add_f32 v159, v80, v77 :: v_dual_fmamk_f32 v80, v74, 0xbf59a7d5, v105
	v_mul_f32_e32 v149, 0xbf2c7751, v153
	v_dual_mul_f32 v77, 0x3f763a35, v153 :: v_dual_add_f32 v160, v80, v88
	s_delay_alu instid0(VALU_DEP_2) | instskip(NEXT) | instid1(VALU_DEP_2)
	v_fma_f32 v86, 0x3f3d2fb0, v75, -v149
	v_fma_f32 v88, 0xbe8c1d8e, v75, -v77
	s_delay_alu instid0(VALU_DEP_2) | instskip(NEXT) | instid1(VALU_DEP_1)
	v_dual_add_f32 v29, v86, v29 :: v_dual_mul_f32 v86, 0xbf4c4adb, v152
	v_fmamk_f32 v109, v74, 0xbf1a4643, v86
	s_delay_alu instid0(VALU_DEP_1) | instskip(SKIP_2) | instid1(VALU_DEP_2)
	v_add_f32_e32 v158, v109, v76
	v_mul_f32_e32 v76, 0x3f763a35, v152
	v_mul_f32_e32 v109, 0x3f06c442, v153
	v_fmamk_f32 v80, v74, 0xbe8c1d8e, v76
	s_delay_alu instid0(VALU_DEP_1) | instskip(NEXT) | instid1(VALU_DEP_1)
	v_dual_mul_f32 v111, 0xbf2c7751, v152 :: v_dual_add_f32 v162, v80, v95
	v_fmamk_f32 v79, v74, 0x3f3d2fb0, v111
	v_mul_f32_e32 v95, 0x3eb8f4ab, v153
	v_add_f32_e32 v161, v161, v100
	s_delay_alu instid0(VALU_DEP_3) | instskip(NEXT) | instid1(VALU_DEP_1)
	v_dual_add_f32 v28, v79, v28 :: v_dual_mul_f32 v79, 0xbe3c28d5, v153
	v_fma_f32 v157, 0xbf7ba420, v75, -v79
	s_delay_alu instid0(VALU_DEP_1) | instskip(SKIP_1) | instid1(VALU_DEP_2)
	v_dual_fmac_f32 v31, 0xbf7ba420, v87 :: v_dual_add_f32 v84, v157, v84
	v_fma_f32 v157, 0xbf59a7d5, v75, -v109
	v_add_f32_e32 v31, v31, v0
	s_delay_alu instid0(VALU_DEP_2) | instskip(SKIP_3) | instid1(VALU_DEP_3)
	v_add_f32_e32 v157, v157, v93
	v_mul_f32_e32 v93, 0x3f65296c, v153
	v_dual_add_f32 v97, v88, v97 :: v_dual_mul_f32 v88, 0x3eb8f4ab, v152
	v_dual_add_f32 v153, v82, v104 :: v_dual_add_f32 v82, v13, v35
	v_fmamk_f32 v80, v75, 0x3ee437d1, v93
	v_fma_f32 v93, 0x3ee437d1, v75, -v93
	s_delay_alu instid0(VALU_DEP_4) | instskip(SKIP_1) | instid1(VALU_DEP_4)
	v_fma_f32 v100, 0x3f6eb680, v74, -v88
	v_fmac_f32_e32 v88, 0x3f6eb680, v74
	v_add_f32_e32 v102, v80, v102
	s_delay_alu instid0(VALU_DEP_3) | instskip(SKIP_1) | instid1(VALU_DEP_2)
	v_dual_fmamk_f32 v80, v75, 0x3f6eb680, v95 :: v_dual_add_f32 v163, v100, v150
	v_mul_f32_e32 v100, 0xbf4c4adb, v164
	v_dual_add_f32 v110, v93, v110 :: v_dual_add_f32 v151, v80, v151
	v_dual_add_f32 v80, v12, v34 :: v_dual_sub_f32 v165, v34, v12
	s_delay_alu instid0(VALU_DEP_1) | instskip(NEXT) | instid1(VALU_DEP_2)
	v_fmamk_f32 v150, v80, 0xbf1a4643, v100
	v_mul_f32_e32 v152, 0x3e3c28d5, v165
	v_dual_mul_f32 v183, 0x3f2c7751, v164 :: v_dual_mul_f32 v184, 0x3f2c7751, v165
	v_dual_add_f32 v31, v88, v31 :: v_dual_mul_f32 v104, 0xbf4c4adb, v165
	s_delay_alu instid0(VALU_DEP_3) | instskip(SKIP_3) | instid1(VALU_DEP_4)
	v_fma_f32 v167, 0xbf7ba420, v82, -v152
	v_add_f32_e32 v30, v150, v30
	v_mul_f32_e32 v150, 0x3e3c28d5, v164
	v_fma_f32 v169, 0x3f3d2fb0, v82, -v184
	v_add_f32_e32 v159, v167, v159
	v_fmamk_f32 v167, v80, 0x3f3d2fb0, v183
	s_delay_alu instid0(VALU_DEP_3) | instskip(NEXT) | instid1(VALU_DEP_2)
	v_dual_fmamk_f32 v166, v80, 0xbf7ba420, v150 :: v_dual_add_f32 v157, v169, v157
	v_add_f32_e32 v160, v167, v160
	v_fma_f32 v93, 0x3f6eb680, v75, -v95
	s_delay_alu instid0(VALU_DEP_3) | instskip(NEXT) | instid1(VALU_DEP_2)
	v_dual_fmamk_f32 v95, v80, 0x3ee437d1, v186 :: v_dual_add_f32 v158, v166, v158
	v_add_f32_e32 v154, v93, v154
	s_delay_alu instid0(VALU_DEP_2) | instskip(SKIP_1) | instid1(VALU_DEP_2)
	v_dual_add_f32 v28, v95, v28 :: v_dual_mul_f32 v95, 0x3f763a35, v165
	v_mul_f32_e32 v169, 0xbf7ee86f, v165
	v_fma_f32 v168, 0xbe8c1d8e, v82, -v95
	s_delay_alu instid0(VALU_DEP_1) | instskip(SKIP_2) | instid1(VALU_DEP_2)
	v_add_f32_e32 v166, v168, v84
	v_mul_f32_e32 v84, 0xbeb8f4ab, v164
	v_mul_f32_e32 v168, 0xbf7ee86f, v164
	v_fmamk_f32 v170, v80, 0x3f6eb680, v84
	v_mul_f32_e32 v187, 0xbf65296c, v165
	s_delay_alu instid0(VALU_DEP_3) | instskip(SKIP_1) | instid1(VALU_DEP_4)
	v_fma_f32 v171, 0x3dbcf732, v80, -v168
	v_fmac_f32_e32 v168, 0x3dbcf732, v80
	v_dual_mul_f32 v93, 0x3f763a35, v164 :: v_dual_add_f32 v162, v170, v162
	s_delay_alu instid0(VALU_DEP_4) | instskip(SKIP_1) | instid1(VALU_DEP_4)
	v_fma_f32 v88, 0x3ee437d1, v82, -v187
	v_mul_f32_e32 v164, 0xbf06c442, v164
	v_add_f32_e32 v168, v168, v153
	v_add_f32_e32 v161, v171, v161
	s_delay_alu instid0(VALU_DEP_4) | instskip(SKIP_1) | instid1(VALU_DEP_1)
	v_add_f32_e32 v29, v88, v29
	v_fma_f32 v88, 0xbf1a4643, v82, -v104
	v_add_f32_e32 v155, v88, v155
	v_fmamk_f32 v88, v80, 0xbe8c1d8e, v93
	s_delay_alu instid0(VALU_DEP_1)
	v_add_f32_e32 v156, v88, v156
	v_mul_f32_e32 v88, 0xbeb8f4ab, v165
	v_mul_f32_e32 v165, 0xbf06c442, v165
	v_fma_f32 v170, 0xbf59a7d5, v80, -v164
	v_fmac_f32_e32 v164, 0xbf59a7d5, v80
	v_mul_f32_e32 v172, 0xbe3c28d5, v182
	v_fma_f32 v167, 0x3f6eb680, v82, -v88
	v_fmamk_f32 v171, v82, 0xbf59a7d5, v165
	v_add_f32_e32 v163, v170, v163
	v_add_f32_e32 v31, v164, v31
	v_mul_f32_e32 v201, 0xbf7ee86f, v182
	v_add_f32_e32 v167, v167, v97
	v_dual_fmamk_f32 v97, v82, 0x3dbcf732, v169 :: v_dual_add_f32 v170, v171, v151
	s_delay_alu instid0(VALU_DEP_1) | instskip(SKIP_2) | instid1(VALU_DEP_2)
	v_add_f32_e32 v173, v97, v102
	v_add_f32_e32 v97, v10, v24
	v_dual_sub_f32 v185, v24, v10 :: v_dual_add_f32 v102, v11, v25
	v_fmamk_f32 v164, v97, 0xbf7ba420, v172
	s_delay_alu instid0(VALU_DEP_2)
	v_mul_f32_e32 v171, 0x3eb8f4ab, v185
	v_mul_f32_e32 v202, 0xbf7ee86f, v185
	;; [unrolled: 1-line block ×4, first 2 shown]
	v_add_f32_e32 v30, v164, v30
	v_fma_f32 v164, 0x3f6eb680, v102, -v171
	v_fmamk_f32 v151, v97, 0x3dbcf732, v201
	v_fma_f32 v153, 0x3dbcf732, v102, -v202
	v_fma_f32 v189, 0x3ee437d1, v102, -v199
	s_delay_alu instid0(VALU_DEP_4) | instskip(NEXT) | instid1(VALU_DEP_4)
	v_add_f32_e32 v164, v164, v166
	v_add_f32_e32 v28, v151, v28
	v_fma_f32 v169, 0x3dbcf732, v82, -v169
	s_delay_alu instid0(VALU_DEP_4) | instskip(SKIP_2) | instid1(VALU_DEP_4)
	v_dual_mul_f32 v166, 0x3f4c4adb, v182 :: v_dual_add_f32 v157, v189, v157
	v_add_f32_e32 v29, v153, v29
	v_mul_f32_e32 v153, 0x3eb8f4ab, v182
	v_add_f32_e32 v169, v169, v110
	v_fma_f32 v110, 0xbf59a7d5, v82, -v165
	v_fma_f32 v192, 0xbf1a4643, v97, -v166
	v_fmac_f32_e32 v166, 0xbf1a4643, v97
	v_fmamk_f32 v151, v97, 0xbe8c1d8e, v188
	v_mul_f32_e32 v189, 0x3f4c4adb, v185
	v_add_f32_e32 v165, v110, v154
	v_fma_f32 v110, 0xbf7ba420, v102, -v174
	v_dual_add_f32 v166, v166, v168 :: v_dual_mul_f32 v191, 0x3f763a35, v185
	v_add_f32_e32 v158, v151, v158
	s_delay_alu instid0(VALU_DEP_3) | instskip(SKIP_1) | instid1(VALU_DEP_4)
	v_dual_fmamk_f32 v154, v97, 0x3f6eb680, v153 :: v_dual_add_f32 v155, v110, v155
	v_mul_f32_e32 v151, 0xbf06c442, v185
	v_fma_f32 v110, 0xbe8c1d8e, v102, -v191
	v_mul_f32_e32 v198, 0xbf65296c, v182
	s_delay_alu instid0(VALU_DEP_4) | instskip(NEXT) | instid1(VALU_DEP_4)
	v_dual_add_f32 v156, v154, v156 :: v_dual_add_f32 v161, v192, v161
	v_fma_f32 v190, 0xbf59a7d5, v102, -v151
	s_delay_alu instid0(VALU_DEP_4) | instskip(NEXT) | instid1(VALU_DEP_4)
	v_dual_add_f32 v159, v110, v159 :: v_dual_mul_f32 v110, 0xbf06c442, v182
	v_fmamk_f32 v154, v97, 0x3ee437d1, v198
	v_dual_mul_f32 v182, 0x3f2c7751, v182 :: v_dual_mul_f32 v185, 0x3f2c7751, v185
	s_delay_alu instid0(VALU_DEP_4) | instskip(NEXT) | instid1(VALU_DEP_3)
	v_add_f32_e32 v167, v190, v167
	v_add_f32_e32 v160, v154, v160
	v_fmamk_f32 v154, v97, 0xbf59a7d5, v110
	s_delay_alu instid0(VALU_DEP_4) | instskip(NEXT) | instid1(VALU_DEP_2)
	v_fma_f32 v190, 0x3f3d2fb0, v97, -v182
	v_add_f32_e32 v162, v154, v162
	v_fmamk_f32 v154, v102, 0xbf1a4643, v189
	s_delay_alu instid0(VALU_DEP_3) | instskip(NEXT) | instid1(VALU_DEP_2)
	v_add_f32_e32 v163, v190, v163
	v_add_f32_e32 v193, v154, v173
	v_dual_fmamk_f32 v154, v102, 0x3f3d2fb0, v185 :: v_dual_add_f32 v173, v9, v27
	v_fma_f32 v185, 0x3f3d2fb0, v102, -v185
	s_delay_alu instid0(VALU_DEP_2) | instskip(SKIP_2) | instid1(VALU_DEP_4)
	v_add_f32_e32 v170, v154, v170
	v_add_f32_e32 v154, v8, v26
	v_fma_f32 v189, 0xbf1a4643, v102, -v189
	v_add_f32_e32 v165, v185, v165
	s_delay_alu instid0(VALU_DEP_2) | instskip(SKIP_1) | instid1(VALU_DEP_2)
	v_dual_add_f32 v168, v189, v169 :: v_dual_sub_f32 v189, v26, v8
	v_sub_f32_e32 v169, v27, v9
	v_mul_f32_e32 v197, 0x3f06c442, v189
	s_delay_alu instid0(VALU_DEP_2)
	v_mul_f32_e32 v213, 0xbf763a35, v169
	v_mul_f32_e32 v205, 0x3f2c7751, v169
	v_fmac_f32_e32 v182, 0x3f3d2fb0, v97
	v_mul_f32_e32 v194, 0xbf65296c, v189
	v_mul_f32_e32 v214, 0xbe3c28d5, v189
	v_fmamk_f32 v190, v154, 0xbe8c1d8e, v213
	v_fmamk_f32 v185, v154, 0x3f3d2fb0, v205
	v_dual_mul_f32 v216, 0xbf763a35, v189 :: v_dual_add_f32 v31, v182, v31
	v_mul_f32_e32 v195, 0x3f06c442, v169
	v_fma_f32 v196, 0x3ee437d1, v173, -v194
	s_delay_alu instid0(VALU_DEP_4) | instskip(NEXT) | instid1(VALU_DEP_4)
	v_add_f32_e32 v158, v185, v158
	v_fma_f32 v182, 0xbe8c1d8e, v173, -v216
	v_mul_f32_e32 v185, 0x3f7ee86f, v169
	v_fma_f32 v200, 0xbf7ba420, v173, -v214
	v_fmamk_f32 v192, v154, 0xbf59a7d5, v195
	v_add_f32_e32 v28, v190, v28
	v_dual_add_f32 v29, v182, v29 :: v_dual_add_f32 v164, v196, v164
	v_fma_f32 v182, 0xbf59a7d5, v173, -v197
	v_mul_f32_e32 v206, 0x3f2c7751, v189
	v_mul_f32_e32 v212, 0xbe3c28d5, v169
	;; [unrolled: 1-line block ×3, first 2 shown]
	v_fmamk_f32 v203, v154, 0x3dbcf732, v185
	v_add_f32_e32 v155, v182, v155
	v_fma_f32 v190, 0x3f3d2fb0, v173, -v206
	v_add_f32_e32 v157, v200, v157
	v_add_f32_e32 v30, v192, v30
	v_mul_f32_e32 v192, 0xbf65296c, v169
	v_dual_mul_f32 v169, 0xbf4c4adb, v169 :: v_dual_add_f32 v162, v203, v162
	v_dual_add_f32 v159, v190, v159 :: v_dual_mul_f32 v190, 0x3f7ee86f, v189
	v_mul_f32_e32 v200, 0xbeb8f4ab, v189
	s_delay_alu instid0(VALU_DEP_3) | instskip(SKIP_2) | instid1(VALU_DEP_3)
	v_fma_f32 v203, 0xbf1a4643, v154, -v169
	v_fmac_f32_e32 v169, 0xbf1a4643, v154
	v_mul_f32_e32 v211, 0x3f763a35, v210
	v_dual_mul_f32 v208, 0xbf06c442, v210 :: v_dual_add_f32 v163, v203, v163
	s_delay_alu instid0(VALU_DEP_3) | instskip(SKIP_1) | instid1(VALU_DEP_1)
	v_add_f32_e32 v31, v169, v31
	v_fma_f32 v204, 0x3f6eb680, v154, -v196
	v_dual_fmamk_f32 v182, v154, 0x3ee437d1, v192 :: v_dual_add_f32 v161, v204, v161
	s_delay_alu instid0(VALU_DEP_1) | instskip(SKIP_1) | instid1(VALU_DEP_1)
	v_add_f32_e32 v156, v182, v156
	v_fmamk_f32 v182, v154, 0xbf7ba420, v212
	v_add_f32_e32 v160, v182, v160
	v_fma_f32 v182, 0x3dbcf732, v173, -v190
	s_delay_alu instid0(VALU_DEP_1) | instskip(NEXT) | instid1(VALU_DEP_1)
	v_dual_add_f32 v167, v182, v167 :: v_dual_mul_f32 v182, 0xbf4c4adb, v189
	v_fma_f32 v169, 0xbf1a4643, v173, -v182
	v_fmac_f32_e32 v196, 0x3f6eb680, v154
	v_fmamk_f32 v204, v173, 0xbf1a4643, v182
	v_fmamk_f32 v189, v173, 0x3f6eb680, v200
	v_fma_f32 v200, 0x3f6eb680, v173, -v200
	s_delay_alu instid0(VALU_DEP_4) | instskip(SKIP_1) | instid1(VALU_DEP_3)
	v_dual_add_f32 v165, v169, v165 :: v_dual_add_f32 v166, v196, v166
	v_add_f32_e32 v196, v7, v21
	v_add_f32_e32 v168, v200, v168
	s_delay_alu instid0(VALU_DEP_2) | instskip(NEXT) | instid1(VALU_DEP_1)
	v_fma_f32 v169, 0xbe8c1d8e, v196, -v211
	v_dual_mul_f32 v232, 0xbf4c4adb, v210 :: v_dual_add_f32 v155, v169, v155
	s_delay_alu instid0(VALU_DEP_1) | instskip(NEXT) | instid1(VALU_DEP_1)
	v_fma_f32 v200, 0xbf1a4643, v196, -v232
	v_add_f32_e32 v29, v200, v29
	v_dual_add_f32 v170, v204, v170 :: v_dual_add_f32 v189, v189, v193
	v_add_f32_e32 v193, v6, v20
	v_fma_f32 v204, 0xbf59a7d5, v196, -v208
	v_mul_f32_e32 v221, 0xbeb8f4ab, v210
	s_delay_alu instid0(VALU_DEP_2) | instskip(NEXT) | instid1(VALU_DEP_1)
	v_dual_fmamk_f32 v203, v193, 0xbe8c1d8e, v209 :: v_dual_add_f32 v164, v204, v164
	v_dual_add_f32 v30, v203, v30 :: v_dual_mul_f32 v203, 0xbf06c442, v207
	s_delay_alu instid0(VALU_DEP_1) | instskip(NEXT) | instid1(VALU_DEP_1)
	v_fmamk_f32 v200, v193, 0xbf59a7d5, v203
	v_add_f32_e32 v156, v200, v156
	v_mul_f32_e32 v200, 0xbf2c7751, v207
	s_delay_alu instid0(VALU_DEP_1) | instskip(NEXT) | instid1(VALU_DEP_1)
	v_fmamk_f32 v215, v193, 0x3f3d2fb0, v200
	v_dual_fmamk_f32 v169, v193, 0x3f6eb680, v219 :: v_dual_add_f32 v162, v215, v162
	s_delay_alu instid0(VALU_DEP_1) | instskip(SKIP_1) | instid1(VALU_DEP_1)
	v_add_f32_e32 v158, v169, v158
	v_fmamk_f32 v169, v193, 0x3dbcf732, v226
	v_dual_add_f32 v160, v169, v160 :: v_dual_mul_f32 v169, 0xbe3c28d5, v207
	v_mul_f32_e32 v207, 0x3f65296c, v207
	s_delay_alu instid0(VALU_DEP_2) | instskip(NEXT) | instid1(VALU_DEP_2)
	v_fma_f32 v220, 0xbf7ba420, v193, -v169
	v_fma_f32 v215, 0x3ee437d1, v193, -v207
	v_mul_f32_e32 v204, 0xbf2c7751, v210
	v_fmamk_f32 v182, v193, 0xbf1a4643, v229
	v_fmac_f32_e32 v169, 0xbf7ba420, v193
	v_add_f32_e32 v161, v220, v161
	v_add_f32_e32 v163, v215, v163
	v_fma_f32 v217, 0x3f3d2fb0, v196, -v204
	v_mul_f32_e32 v230, 0x3f7ee86f, v210
	v_mul_f32_e32 v210, 0x3f65296c, v210
	v_add_f32_e32 v28, v182, v28
	v_fma_f32 v182, 0x3f6eb680, v196, -v221
	v_dual_add_f32 v166, v169, v166 :: v_dual_fmac_f32 v207, 0x3ee437d1, v193
	s_delay_alu instid0(VALU_DEP_4) | instskip(SKIP_1) | instid1(VALU_DEP_4)
	v_fmamk_f32 v169, v196, 0x3ee437d1, v210
	v_add_f32_e32 v167, v217, v167
	v_add_f32_e32 v159, v182, v159
	v_fma_f32 v182, 0x3dbcf732, v196, -v230
	s_delay_alu instid0(VALU_DEP_4) | instskip(SKIP_1) | instid1(VALU_DEP_3)
	v_dual_add_f32 v169, v169, v170 :: v_dual_add_f32 v170, v207, v31
	v_sub_f32_e32 v31, v22, v4
	v_add_f32_e32 v157, v182, v157
	s_delay_alu instid0(VALU_DEP_2) | instskip(SKIP_4) | instid1(VALU_DEP_4)
	v_mul_f32_e32 v225, 0x3f65296c, v31
	v_fma_f32 v215, 0x3ee437d1, v196, -v210
	v_add_f32_e32 v210, v5, v23
	v_fmamk_f32 v182, v196, 0xbf7ba420, v218
	v_mul_f32_e32 v235, 0xbf7ee86f, v31
	v_dual_mul_f32 v220, 0x3f4c4adb, v31 :: v_dual_add_f32 v165, v215, v165
	s_delay_alu instid0(VALU_DEP_3) | instskip(SKIP_1) | instid1(VALU_DEP_1)
	v_dual_mul_f32 v223, 0x3f2c7751, v31 :: v_dual_add_f32 v182, v182, v189
	v_fma_f32 v189, 0xbf7ba420, v196, -v218
	v_dual_add_f32 v168, v189, v168 :: v_dual_sub_f32 v189, v23, v5
	s_delay_alu instid0(VALU_DEP_1) | instskip(SKIP_1) | instid1(VALU_DEP_2)
	v_dual_add_f32 v207, v4, v22 :: v_dual_mul_f32 v240, 0xbf06c442, v189
	v_mul_f32_e32 v234, 0xbf7ee86f, v189
	v_fmamk_f32 v217, v207, 0xbf59a7d5, v240
	s_delay_alu instid0(VALU_DEP_1) | instskip(SKIP_2) | instid1(VALU_DEP_3)
	v_dual_mul_f32 v241, 0xbf06c442, v31 :: v_dual_add_f32 v28, v217, v28
	v_fma_f32 v217, 0x3ee437d1, v210, -v225
	v_mul_f32_e32 v224, 0x3f65296c, v189
	v_fma_f32 v215, 0xbf59a7d5, v210, -v241
	s_delay_alu instid0(VALU_DEP_2) | instskip(NEXT) | instid1(VALU_DEP_2)
	v_dual_add_f32 v155, v217, v155 :: v_dual_fmamk_f32 v218, v207, 0x3ee437d1, v224
	v_add_f32_e32 v29, v215, v29
	v_fma_f32 v215, 0x3dbcf732, v210, -v235
	v_mul_f32_e32 v238, 0xbeb8f4ab, v189
	s_delay_alu instid0(VALU_DEP_4) | instskip(SKIP_4) | instid1(VALU_DEP_4)
	v_add_f32_e32 v228, v218, v30
	v_fmamk_f32 v30, v207, 0x3dbcf732, v234
	v_mul_f32_e32 v217, 0x3f4c4adb, v189
	v_fma_f32 v218, 0xbf1a4643, v210, -v220
	v_mul_f32_e32 v239, 0xbeb8f4ab, v31
	v_dual_add_f32 v159, v215, v159 :: v_dual_add_f32 v158, v30, v158
	s_delay_alu instid0(VALU_DEP_4) | instskip(NEXT) | instid1(VALU_DEP_4)
	v_fmamk_f32 v30, v207, 0xbf1a4643, v217
	v_add_f32_e32 v164, v218, v164
	s_delay_alu instid0(VALU_DEP_2) | instskip(SKIP_2) | instid1(VALU_DEP_2)
	v_dual_mul_f32 v218, 0xbe3c28d5, v31 :: v_dual_add_f32 v231, v30, v156
	v_fma_f32 v30, 0x3f6eb680, v210, -v239
	v_mul_f32_e32 v156, 0x3f2c7751, v189
	v_add_f32_e32 v248, v30, v157
	s_delay_alu instid0(VALU_DEP_4) | instskip(NEXT) | instid1(VALU_DEP_3)
	v_fma_f32 v30, 0xbf7ba420, v210, -v218
	v_fma_f32 v157, 0x3f3d2fb0, v207, -v156
	v_fmamk_f32 v222, v207, 0x3f6eb680, v238
	v_fmac_f32_e32 v156, 0x3f3d2fb0, v207
	s_delay_alu instid0(VALU_DEP_4) | instskip(NEXT) | instid1(VALU_DEP_3)
	v_add_f32_e32 v167, v30, v167
	v_dual_mul_f32 v215, 0xbe3c28d5, v189 :: v_dual_add_f32 v160, v222, v160
	v_add_f32_e32 v249, v157, v161
	s_delay_alu instid0(VALU_DEP_4) | instskip(SKIP_2) | instid1(VALU_DEP_3)
	v_dual_mul_f32 v161, 0xbf763a35, v31 :: v_dual_add_f32 v250, v156, v166
	v_mul_f32_e32 v189, 0xbf763a35, v189
	v_fma_f32 v30, 0x3f3d2fb0, v210, -v223
	v_fmamk_f32 v156, v210, 0xbe8c1d8e, v161
	v_fmamk_f32 v222, v207, 0xbf7ba420, v215
	s_delay_alu instid0(VALU_DEP_4) | instskip(SKIP_1) | instid1(VALU_DEP_3)
	v_fma_f32 v31, 0xbe8c1d8e, v207, -v189
	v_fmac_f32_e32 v189, 0xbe8c1d8e, v207
	v_dual_add_f32 v253, v156, v169 :: v_dual_add_f32 v162, v222, v162
	s_delay_alu instid0(VALU_DEP_3) | instskip(SKIP_1) | instid1(VALU_DEP_4)
	v_dual_fmamk_f32 v222, v210, 0x3f3d2fb0, v223 :: v_dual_add_f32 v163, v31, v163
	v_dual_add_f32 v223, v19, v17 :: v_dual_add_f32 v168, v30, v168
	v_add_f32_e32 v189, v189, v170
	s_delay_alu instid0(VALU_DEP_3) | instskip(SKIP_1) | instid1(VALU_DEP_4)
	v_add_f32_e32 v182, v222, v182
	v_add_f32_e32 v222, v18, v16
	v_fma_f32 v31, 0xbf7ba420, v223, -v247
	v_fma_f32 v157, 0xbf59a7d5, v223, -v243
	v_mul_f32_e32 v233, 0x3f2c7751, v252
	s_delay_alu instid0(VALU_DEP_3) | instskip(SKIP_1) | instid1(VALU_DEP_1)
	v_dual_fmamk_f32 v156, v222, 0xbf59a7d5, v242 :: v_dual_add_f32 v31, v31, v29
	v_fma_f32 v29, 0x3f6eb680, v223, -v237
	v_add_f32_e32 v29, v29, v155
	s_delay_alu instid0(VALU_DEP_3) | instskip(SKIP_4) | instid1(VALU_DEP_3)
	v_dual_add_f32 v155, v156, v158 :: v_dual_add_f32 v156, v157, v159
	v_fmamk_f32 v159, v222, 0xbf1a4643, v244
	v_mul_f32_e32 v246, 0xbe3c28d5, v251
	v_fmamk_f32 v166, v222, 0x3f3d2fb0, v227
	v_fma_f32 v158, 0x3f3d2fb0, v223, -v233
	v_dual_add_f32 v159, v159, v160 :: v_dual_fmamk_f32 v30, v222, 0xbf7ba420, v246
	s_delay_alu instid0(VALU_DEP_3)
	v_add_f32_e32 v157, v166, v231
	v_mul_f32_e32 v231, 0x3f65296c, v252
	v_fma_f32 v166, 0xbf1a4643, v223, -v245
	v_add_f32_e32 v158, v158, v164
	v_add_f32_e32 v30, v30, v28
	v_fmamk_f32 v28, v222, 0x3f6eb680, v236
	v_fma_f32 v169, 0x3ee437d1, v223, -v231
	v_add_f32_e32 v160, v166, v248
	v_fma_f32 v166, 0xbe8c1d8e, v210, -v161
	v_mul_f32_e32 v248, 0xbf763a35, v251
	v_add_f32_e32 v28, v28, v228
	s_delay_alu instid0(VALU_DEP_3) | instskip(NEXT) | instid1(VALU_DEP_1)
	v_dual_mul_f32 v228, 0x3f65296c, v251 :: v_dual_add_f32 v255, v166, v165
	v_fmamk_f32 v164, v222, 0x3ee437d1, v228
	s_delay_alu instid0(VALU_DEP_1) | instskip(SKIP_3) | instid1(VALU_DEP_4)
	v_dual_add_f32 v161, v164, v162 :: v_dual_mul_f32 v164, 0xbf763a35, v252
	v_add_f32_e32 v162, v169, v167
	v_fma_f32 v167, 0xbe8c1d8e, v222, -v248
	v_fmac_f32_e32 v248, 0xbe8c1d8e, v222
	v_fmamk_f32 v169, v223, 0xbe8c1d8e, v164
	v_fma_f32 v164, 0xbe8c1d8e, v223, -v164
	s_delay_alu instid0(VALU_DEP_4) | instskip(SKIP_2) | instid1(VALU_DEP_4)
	v_add_f32_e32 v165, v167, v249
	v_mul_f32_e32 v167, 0x3f7ee86f, v251
	v_add_f32_e32 v137, v248, v250
	v_add_f32_e32 v138, v164, v168
	v_mul_lo_u16 v164, v140, 17
	v_add_f32_e32 v166, v169, v182
	v_mul_f32_e32 v182, 0x3f7ee86f, v252
	v_fma_f32 v168, 0x3dbcf732, v222, -v167
	v_fmac_f32_e32 v167, 0x3dbcf732, v222
	v_and_b32_e32 v249, 0xffff, v164
	s_delay_alu instid0(VALU_DEP_4)
	v_fmamk_f32 v248, v223, 0x3dbcf732, v182
	v_fma_f32 v182, 0x3dbcf732, v223, -v182
	v_add_f32_e32 v163, v168, v163
	v_add_f32_e32 v167, v167, v189
	v_lshl_add_u32 v189, v249, 3, v116
	v_add_f32_e32 v164, v248, v253
	v_add_f32_e32 v168, v182, v255
	ds_store_2addr_b64 v189, v[62:63], v[40:41] offset1:1
	ds_store_2addr_b64 v189, v[44:45], v[48:49] offset0:2 offset1:3
	ds_store_2addr_b64 v189, v[50:51], v[54:55] offset0:4 offset1:5
	;; [unrolled: 1-line block ×7, first 2 shown]
	ds_store_b64 v189, v[36:37] offset:128
	s_and_saveexec_b32 s2, vcc_lo
	s_cbranch_execz .LBB0_7
; %bb.6:
	v_dual_add_f32 v3, v3, v1 :: v_dual_add_f32 v2, v2, v0
	s_delay_alu instid0(VALU_DEP_1) | instskip(NEXT) | instid1(VALU_DEP_1)
	v_dual_add_f32 v3, v33, v3 :: v_dual_add_f32 v2, v32, v2
	v_dual_add_f32 v3, v35, v3 :: v_dual_add_f32 v2, v34, v2
	s_delay_alu instid0(VALU_DEP_1) | instskip(NEXT) | instid1(VALU_DEP_1)
	v_dual_add_f32 v3, v25, v3 :: v_dual_add_f32 v2, v24, v2
	;; [unrolled: 3-line block ×4, first 2 shown]
	v_dual_add_f32 v3, v19, v3 :: v_dual_add_f32 v2, v18, v2
	s_delay_alu instid0(VALU_DEP_1) | instskip(SKIP_1) | instid1(VALU_DEP_2)
	v_dual_add_f32 v3, v5, v3 :: v_dual_add_f32 v2, v4, v2
	v_dual_mul_f32 v4, 0xbf1a4643, v90 :: v_dual_mul_f32 v5, 0xbf1a4643, v87
	v_dual_add_f32 v3, v7, v3 :: v_dual_add_f32 v2, v6, v2
	v_dual_mul_f32 v6, 0xbe8c1d8e, v90 :: v_dual_mul_f32 v7, 0xbe8c1d8e, v87
	s_delay_alu instid0(VALU_DEP_3) | instskip(NEXT) | instid1(VALU_DEP_3)
	v_dual_add_f32 v4, v108, v4 :: v_dual_sub_f32 v5, v5, v107
	v_dual_add_f32 v3, v9, v3 :: v_dual_add_f32 v2, v8, v2
	v_dual_mul_f32 v8, 0x3dbcf732, v90 :: v_dual_mul_f32 v9, 0x3dbcf732, v87
	s_delay_alu instid0(VALU_DEP_4) | instskip(NEXT) | instid1(VALU_DEP_3)
	v_dual_add_f32 v6, v106, v6 :: v_dual_sub_f32 v7, v7, v103
	v_dual_add_f32 v3, v11, v3 :: v_dual_add_f32 v2, v10, v2
	s_delay_alu instid0(VALU_DEP_3) | instskip(NEXT) | instid1(VALU_DEP_4)
	v_dual_add_f32 v8, v101, v8 :: v_dual_mul_f32 v11, 0x3ee437d1, v87
	v_dual_sub_f32 v9, v9, v99 :: v_dual_mul_f32 v10, 0x3ee437d1, v90
	s_delay_alu instid0(VALU_DEP_3) | instskip(SKIP_1) | instid1(VALU_DEP_3)
	v_dual_add_f32 v3, v13, v3 :: v_dual_add_f32 v2, v12, v2
	v_dual_mul_f32 v12, 0x3f3d2fb0, v90 :: v_dual_mul_f32 v13, 0x3f3d2fb0, v87
	v_dual_add_f32 v10, v98, v10 :: v_dual_sub_f32 v11, v11, v96
	s_delay_alu instid0(VALU_DEP_3) | instskip(NEXT) | instid1(VALU_DEP_3)
	v_dual_add_f32 v3, v15, v3 :: v_dual_add_f32 v2, v14, v2
	v_dual_add_f32 v12, v94, v12 :: v_dual_mul_f32 v15, 0x3f6eb680, v87
	s_delay_alu instid0(VALU_DEP_4) | instskip(SKIP_1) | instid1(VALU_DEP_3)
	v_dual_sub_f32 v13, v13, v92 :: v_dual_mul_f32 v14, 0x3f6eb680, v90
	v_dual_add_f32 v16, v4, v1 :: v_dual_add_f32 v17, v5, v0
	v_sub_f32_e32 v15, v15, v85
	v_dual_add_f32 v4, v6, v1 :: v_dual_add_f32 v5, v7, v0
	s_delay_alu instid0(VALU_DEP_4) | instskip(SKIP_3) | instid1(VALU_DEP_4)
	v_add_f32_e32 v14, v89, v14
	v_dual_add_f32 v18, v8, v1 :: v_dual_add_f32 v19, v9, v0
	v_dual_add_f32 v6, v10, v1 :: v_dual_add_f32 v7, v11, v0
	;; [unrolled: 1-line block ×5, first 2 shown]
	v_dual_mul_f32 v2, 0x3f3d2fb0, v75 :: v_dual_mul_f32 v3, 0x3f3d2fb0, v74
	v_mul_f32_e32 v13, 0xbe8c1d8e, v80
	v_mul_f32_e32 v14, 0xbf1a4643, v210
	s_delay_alu instid0(VALU_DEP_3) | instskip(NEXT) | instid1(VALU_DEP_4)
	v_dual_mul_f32 v15, 0xbf59a7d5, v193 :: v_dual_add_f32 v2, v149, v2
	v_dual_sub_f32 v3, v3, v111 :: v_dual_mul_f32 v12, 0x3ee437d1, v82
	s_delay_alu instid0(VALU_DEP_3) | instskip(NEXT) | instid1(VALU_DEP_2)
	v_dual_sub_f32 v13, v13, v93 :: v_dual_add_f32 v14, v220, v14
	v_dual_add_f32 v2, v2, v10 :: v_dual_add_f32 v3, v3, v11
	s_delay_alu instid0(VALU_DEP_3) | instskip(SKIP_1) | instid1(VALU_DEP_2)
	v_dual_add_f32 v12, v187, v12 :: v_dual_mul_f32 v11, 0x3dbcf732, v102
	v_dual_mul_f32 v10, 0x3ee437d1, v80 :: v_dual_sub_f32 v15, v15, v203
	v_dual_add_f32 v2, v12, v2 :: v_dual_add_f32 v11, v202, v11
	s_delay_alu instid0(VALU_DEP_1) | instskip(NEXT) | instid1(VALU_DEP_1)
	v_dual_add_f32 v2, v11, v2 :: v_dual_mul_f32 v11, 0xbe8c1d8e, v173
	v_dual_sub_f32 v10, v10, v186 :: v_dual_add_f32 v11, v216, v11
	s_delay_alu instid0(VALU_DEP_1) | instskip(SKIP_1) | instid1(VALU_DEP_1)
	v_dual_add_f32 v3, v10, v3 :: v_dual_add_f32 v2, v11, v2
	v_mul_f32_e32 v11, 0xbf1a4643, v196
	v_dual_mul_f32 v10, 0x3dbcf732, v97 :: v_dual_add_f32 v11, v232, v11
	s_delay_alu instid0(VALU_DEP_1) | instskip(NEXT) | instid1(VALU_DEP_2)
	v_sub_f32_e32 v10, v10, v201
	v_add_f32_e32 v2, v11, v2
	v_mul_f32_e32 v11, 0xbf59a7d5, v210
	s_delay_alu instid0(VALU_DEP_3) | instskip(NEXT) | instid1(VALU_DEP_1)
	v_dual_add_f32 v3, v10, v3 :: v_dual_mul_f32 v10, 0xbe8c1d8e, v154
	v_dual_add_f32 v11, v241, v11 :: v_dual_sub_f32 v10, v10, v213
	s_delay_alu instid0(VALU_DEP_1) | instskip(NEXT) | instid1(VALU_DEP_2)
	v_dual_add_f32 v2, v11, v2 :: v_dual_mul_f32 v11, 0xbf7ba420, v223
	v_dual_add_f32 v3, v10, v3 :: v_dual_mul_f32 v10, 0xbf1a4643, v193
	s_delay_alu instid0(VALU_DEP_1) | instskip(NEXT) | instid1(VALU_DEP_1)
	v_dual_add_f32 v11, v247, v11 :: v_dual_sub_f32 v10, v10, v229
	v_add_f32_e32 v3, v10, v3
	v_mul_f32_e32 v10, 0xbf59a7d5, v207
	s_delay_alu instid0(VALU_DEP_1) | instskip(NEXT) | instid1(VALU_DEP_1)
	v_sub_f32_e32 v10, v10, v240
	v_dual_add_f32 v10, v10, v3 :: v_dual_mul_f32 v3, 0xbf7ba420, v222
	s_delay_alu instid0(VALU_DEP_1) | instskip(SKIP_2) | instid1(VALU_DEP_1)
	v_sub_f32_e32 v12, v3, v246
	v_add_f32_e32 v3, v11, v2
	v_mul_f32_e32 v11, 0xbf59a7d5, v74
	v_sub_f32_e32 v11, v11, v105
	s_delay_alu instid0(VALU_DEP_1) | instskip(SKIP_1) | instid1(VALU_DEP_1)
	v_add_f32_e32 v5, v11, v5
	v_mul_f32_e32 v11, 0x3f3d2fb0, v80
	v_sub_f32_e32 v11, v11, v183
	s_delay_alu instid0(VALU_DEP_1) | instskip(SKIP_1) | instid1(VALU_DEP_1)
	v_add_f32_e32 v5, v11, v5
	v_mul_f32_e32 v11, 0x3ee437d1, v97
	v_sub_f32_e32 v11, v11, v198
	v_add_f32_e32 v2, v12, v10
	s_delay_alu instid0(VALU_DEP_2) | instskip(SKIP_1) | instid1(VALU_DEP_1)
	v_dual_mul_f32 v10, 0xbf59a7d5, v75 :: v_dual_add_f32 v5, v11, v5
	v_mul_f32_e32 v11, 0x3f6eb680, v210
	v_dual_add_f32 v10, v109, v10 :: v_dual_add_f32 v11, v239, v11
	s_delay_alu instid0(VALU_DEP_1) | instskip(SKIP_1) | instid1(VALU_DEP_1)
	v_add_f32_e32 v4, v10, v4
	v_mul_f32_e32 v10, 0x3f3d2fb0, v82
	v_add_f32_e32 v10, v184, v10
	s_delay_alu instid0(VALU_DEP_1) | instskip(SKIP_1) | instid1(VALU_DEP_1)
	v_add_f32_e32 v4, v10, v4
	v_mul_f32_e32 v10, 0x3ee437d1, v102
	v_add_f32_e32 v10, v199, v10
	s_delay_alu instid0(VALU_DEP_1) | instskip(SKIP_1) | instid1(VALU_DEP_1)
	v_add_f32_e32 v4, v10, v4
	v_mul_f32_e32 v10, 0xbf7ba420, v173
	v_add_f32_e32 v10, v214, v10
	s_delay_alu instid0(VALU_DEP_1) | instskip(SKIP_1) | instid1(VALU_DEP_1)
	v_add_f32_e32 v4, v10, v4
	v_mul_f32_e32 v10, 0x3dbcf732, v196
	v_add_f32_e32 v10, v230, v10
	s_delay_alu instid0(VALU_DEP_1) | instskip(SKIP_1) | instid1(VALU_DEP_2)
	v_add_f32_e32 v4, v10, v4
	v_mul_f32_e32 v10, 0xbf7ba420, v154
	v_add_f32_e32 v4, v11, v4
	s_delay_alu instid0(VALU_DEP_2) | instskip(NEXT) | instid1(VALU_DEP_1)
	v_dual_sub_f32 v10, v10, v212 :: v_dual_mul_f32 v11, 0xbf1a4643, v223
	v_add_f32_e32 v5, v10, v5
	s_delay_alu instid0(VALU_DEP_2) | instskip(NEXT) | instid1(VALU_DEP_1)
	v_dual_mul_f32 v10, 0x3dbcf732, v193 :: v_dual_add_f32 v11, v245, v11
	v_sub_f32_e32 v10, v10, v226
	s_delay_alu instid0(VALU_DEP_1) | instskip(NEXT) | instid1(VALU_DEP_1)
	v_dual_add_f32 v5, v10, v5 :: v_dual_mul_f32 v10, 0x3f6eb680, v207
	v_sub_f32_e32 v10, v10, v238
	s_delay_alu instid0(VALU_DEP_1) | instskip(NEXT) | instid1(VALU_DEP_1)
	v_dual_add_f32 v10, v10, v5 :: v_dual_mul_f32 v5, 0xbf1a4643, v222
	v_sub_f32_e32 v12, v5, v244
	v_add_f32_e32 v5, v11, v4
	v_mul_f32_e32 v11, 0xbf1a4643, v74
	s_delay_alu instid0(VALU_DEP_1) | instskip(NEXT) | instid1(VALU_DEP_1)
	v_sub_f32_e32 v11, v11, v86
	v_add_f32_e32 v7, v11, v7
	v_mul_f32_e32 v11, 0xbf7ba420, v80
	s_delay_alu instid0(VALU_DEP_1) | instskip(NEXT) | instid1(VALU_DEP_1)
	;; [unrolled: 4-line block ×3, first 2 shown]
	v_sub_f32_e32 v11, v11, v188
	v_add_f32_e32 v7, v11, v7
	v_mul_f32_e32 v11, 0x3dbcf732, v210
	v_add_f32_e32 v4, v12, v10
	v_mul_f32_e32 v10, 0xbf1a4643, v75
	s_delay_alu instid0(VALU_DEP_3) | instskip(NEXT) | instid1(VALU_DEP_2)
	v_add_f32_e32 v11, v235, v11
	v_add_f32_e32 v10, v91, v10
	s_delay_alu instid0(VALU_DEP_1) | instskip(SKIP_1) | instid1(VALU_DEP_1)
	v_add_f32_e32 v6, v10, v6
	v_mul_f32_e32 v10, 0xbf7ba420, v82
	v_add_f32_e32 v10, v152, v10
	s_delay_alu instid0(VALU_DEP_1) | instskip(SKIP_1) | instid1(VALU_DEP_1)
	v_add_f32_e32 v6, v10, v6
	v_mul_f32_e32 v10, 0xbe8c1d8e, v102
	;; [unrolled: 4-line block ×5, first 2 shown]
	v_sub_f32_e32 v10, v10, v205
	s_delay_alu instid0(VALU_DEP_1) | instskip(NEXT) | instid1(VALU_DEP_1)
	v_dual_add_f32 v7, v10, v7 :: v_dual_mul_f32 v10, 0x3f6eb680, v193
	v_sub_f32_e32 v10, v10, v219
	v_dual_add_f32 v6, v11, v6 :: v_dual_mul_f32 v11, 0xbf59a7d5, v223
	s_delay_alu instid0(VALU_DEP_2) | instskip(SKIP_1) | instid1(VALU_DEP_1)
	v_add_f32_e32 v7, v10, v7
	v_mul_f32_e32 v10, 0x3dbcf732, v207
	v_dual_add_f32 v11, v243, v11 :: v_dual_sub_f32 v10, v10, v234
	s_delay_alu instid0(VALU_DEP_1) | instskip(NEXT) | instid1(VALU_DEP_1)
	v_dual_add_f32 v10, v10, v7 :: v_dual_mul_f32 v7, 0xbf59a7d5, v222
	v_sub_f32_e32 v12, v7, v242
	s_delay_alu instid0(VALU_DEP_3) | instskip(SKIP_1) | instid1(VALU_DEP_1)
	v_add_f32_e32 v7, v11, v6
	v_mul_f32_e32 v11, 0x3dbcf732, v74
	v_sub_f32_e32 v11, v11, v81
	s_delay_alu instid0(VALU_DEP_1) | instskip(SKIP_1) | instid1(VALU_DEP_1)
	v_add_f32_e32 v9, v11, v9
	v_mul_f32_e32 v11, 0xbf1a4643, v80
	v_sub_f32_e32 v11, v11, v100
	s_delay_alu instid0(VALU_DEP_1) | instskip(SKIP_1) | instid1(VALU_DEP_1)
	v_add_f32_e32 v9, v11, v9
	v_mul_f32_e32 v11, 0xbf7ba420, v97
	v_sub_f32_e32 v11, v11, v172
	s_delay_alu instid0(VALU_DEP_1) | instskip(SKIP_3) | instid1(VALU_DEP_3)
	v_add_f32_e32 v9, v11, v9
	v_mul_f32_e32 v11, 0xbf59a7d5, v154
	v_add_f32_e32 v6, v12, v10
	v_mul_f32_e32 v10, 0x3dbcf732, v75
	v_sub_f32_e32 v11, v11, v195
	s_delay_alu instid0(VALU_DEP_2) | instskip(NEXT) | instid1(VALU_DEP_2)
	v_add_f32_e32 v10, v83, v10
	v_add_f32_e32 v9, v11, v9
	s_delay_alu instid0(VALU_DEP_2) | instskip(NEXT) | instid1(VALU_DEP_1)
	v_dual_mul_f32 v11, 0xbe8c1d8e, v193 :: v_dual_add_f32 v8, v10, v8
	v_dual_mul_f32 v10, 0xbf1a4643, v82 :: v_dual_sub_f32 v11, v11, v209
	s_delay_alu instid0(VALU_DEP_1) | instskip(NEXT) | instid1(VALU_DEP_1)
	v_dual_add_f32 v10, v104, v10 :: v_dual_add_f32 v9, v11, v9
	v_dual_mul_f32 v11, 0x3f6eb680, v223 :: v_dual_add_f32 v8, v10, v8
	s_delay_alu instid0(VALU_DEP_1) | instskip(NEXT) | instid1(VALU_DEP_1)
	v_dual_mul_f32 v10, 0xbf7ba420, v102 :: v_dual_add_f32 v11, v237, v11
	v_add_f32_e32 v10, v174, v10
	s_delay_alu instid0(VALU_DEP_1) | instskip(SKIP_1) | instid1(VALU_DEP_1)
	v_add_f32_e32 v8, v10, v8
	v_mul_f32_e32 v10, 0xbf59a7d5, v173
	v_add_f32_e32 v10, v197, v10
	s_delay_alu instid0(VALU_DEP_1) | instskip(SKIP_1) | instid1(VALU_DEP_1)
	v_add_f32_e32 v8, v10, v8
	v_mul_f32_e32 v10, 0xbe8c1d8e, v196
	;; [unrolled: 4-line block ×4, first 2 shown]
	v_sub_f32_e32 v10, v10, v224
	s_delay_alu instid0(VALU_DEP_1) | instskip(NEXT) | instid1(VALU_DEP_1)
	v_dual_add_f32 v10, v10, v9 :: v_dual_mul_f32 v9, 0x3f6eb680, v222
	v_sub_f32_e32 v12, v9, v236
	v_add_f32_e32 v9, v11, v8
	v_mul_f32_e32 v11, 0xbe8c1d8e, v82
	s_delay_alu instid0(VALU_DEP_3) | instskip(SKIP_1) | instid1(VALU_DEP_3)
	v_add_f32_e32 v8, v12, v10
	v_mul_f32_e32 v10, 0xbf7ba420, v75
	v_dual_add_f32 v11, v95, v11 :: v_dual_mul_f32 v12, 0xbf7ba420, v74
	s_delay_alu instid0(VALU_DEP_2) | instskip(NEXT) | instid1(VALU_DEP_2)
	v_add_f32_e32 v10, v79, v10
	v_sub_f32_e32 v12, v12, v78
	s_delay_alu instid0(VALU_DEP_2) | instskip(SKIP_1) | instid1(VALU_DEP_3)
	v_add_f32_e32 v10, v10, v18
	v_mul_f32_e32 v18, 0x3ee437d1, v222
	v_add_f32_e32 v12, v12, v19
	v_lshl_add_u32 v19, v139, 3, v116
	s_delay_alu instid0(VALU_DEP_4) | instskip(NEXT) | instid1(VALU_DEP_3)
	v_add_f32_e32 v10, v11, v10
	v_dual_mul_f32 v11, 0x3f6eb680, v102 :: v_dual_add_f32 v12, v13, v12
	v_dual_mul_f32 v13, 0x3f6eb680, v97 :: v_dual_sub_f32 v18, v18, v228
	s_delay_alu instid0(VALU_DEP_2) | instskip(NEXT) | instid1(VALU_DEP_1)
	v_add_f32_e32 v11, v171, v11
	v_dual_sub_f32 v13, v13, v153 :: v_dual_add_f32 v10, v11, v10
	v_mul_f32_e32 v11, 0x3ee437d1, v173
	s_delay_alu instid0(VALU_DEP_1) | instskip(NEXT) | instid1(VALU_DEP_1)
	v_add_f32_e32 v11, v194, v11
	v_dual_add_f32 v10, v11, v10 :: v_dual_mul_f32 v11, 0xbf59a7d5, v196
	s_delay_alu instid0(VALU_DEP_1) | instskip(NEXT) | instid1(VALU_DEP_1)
	v_add_f32_e32 v11, v208, v11
	v_dual_add_f32 v10, v11, v10 :: v_dual_add_f32 v11, v13, v12
	v_mul_f32_e32 v12, 0x3ee437d1, v154
	s_delay_alu instid0(VALU_DEP_2) | instskip(SKIP_1) | instid1(VALU_DEP_2)
	v_dual_mul_f32 v13, 0xbe8c1d8e, v75 :: v_dual_add_f32 v10, v14, v10
	v_mul_f32_e32 v14, 0xbe8c1d8e, v74
	v_dual_sub_f32 v12, v12, v192 :: v_dual_add_f32 v13, v77, v13
	s_delay_alu instid0(VALU_DEP_1) | instskip(NEXT) | instid1(VALU_DEP_2)
	v_dual_sub_f32 v14, v14, v76 :: v_dual_add_f32 v11, v12, v11
	v_dual_add_f32 v12, v13, v16 :: v_dual_mul_f32 v13, 0x3f6eb680, v82
	s_delay_alu instid0(VALU_DEP_2) | instskip(SKIP_1) | instid1(VALU_DEP_3)
	v_dual_mul_f32 v16, 0x3f3d2fb0, v196 :: v_dual_add_f32 v11, v15, v11
	v_mul_f32_e32 v15, 0xbf1a4643, v207
	v_add_f32_e32 v13, v88, v13
	s_delay_alu instid0(VALU_DEP_2) | instskip(NEXT) | instid1(VALU_DEP_2)
	v_dual_add_f32 v16, v204, v16 :: v_dual_sub_f32 v15, v15, v217
	v_dual_add_f32 v12, v13, v12 :: v_dual_mul_f32 v13, 0xbf59a7d5, v102
	s_delay_alu instid0(VALU_DEP_2) | instskip(NEXT) | instid1(VALU_DEP_2)
	v_add_f32_e32 v15, v15, v11
	v_add_f32_e32 v13, v151, v13
	s_delay_alu instid0(VALU_DEP_1) | instskip(NEXT) | instid1(VALU_DEP_1)
	v_dual_add_f32 v12, v13, v12 :: v_dual_mul_f32 v13, 0x3dbcf732, v173
	v_add_f32_e32 v13, v190, v13
	s_delay_alu instid0(VALU_DEP_1) | instskip(SKIP_2) | instid1(VALU_DEP_3)
	v_dual_add_f32 v12, v13, v12 :: v_dual_add_f32 v13, v14, v17
	v_mul_f32_e32 v14, 0x3f6eb680, v80
	v_mul_f32_e32 v17, 0x3f3d2fb0, v223
	v_dual_add_f32 v11, v16, v12 :: v_dual_mul_f32 v16, 0x3f3d2fb0, v222
	s_delay_alu instid0(VALU_DEP_2) | instskip(NEXT) | instid1(VALU_DEP_1)
	v_dual_sub_f32 v14, v14, v84 :: v_dual_add_f32 v17, v233, v17
	v_dual_sub_f32 v16, v16, v227 :: v_dual_add_f32 v13, v14, v13
	v_mul_f32_e32 v14, 0xbf59a7d5, v97
	s_delay_alu instid0(VALU_DEP_1) | instskip(NEXT) | instid1(VALU_DEP_1)
	v_sub_f32_e32 v14, v14, v110
	v_dual_add_f32 v12, v14, v13 :: v_dual_mul_f32 v13, 0x3dbcf732, v154
	s_delay_alu instid0(VALU_DEP_1) | instskip(NEXT) | instid1(VALU_DEP_1)
	v_dual_mul_f32 v14, 0xbf7ba420, v210 :: v_dual_sub_f32 v13, v13, v185
	v_add_f32_e32 v14, v218, v14
	s_delay_alu instid0(VALU_DEP_2) | instskip(NEXT) | instid1(VALU_DEP_1)
	v_dual_add_f32 v12, v13, v12 :: v_dual_mul_f32 v13, 0x3f3d2fb0, v193
	v_dual_add_f32 v14, v14, v11 :: v_dual_sub_f32 v13, v13, v200
	s_delay_alu instid0(VALU_DEP_1) | instskip(SKIP_1) | instid1(VALU_DEP_1)
	v_dual_add_f32 v11, v13, v12 :: v_dual_mul_f32 v12, 0xbf7ba420, v207
	v_mul_f32_e32 v13, 0x3ee437d1, v223
	v_dual_sub_f32 v12, v12, v215 :: v_dual_add_f32 v13, v231, v13
	s_delay_alu instid0(VALU_DEP_1) | instskip(SKIP_1) | instid1(VALU_DEP_2)
	v_dual_add_f32 v12, v12, v11 :: v_dual_add_f32 v13, v13, v14
	v_dual_add_f32 v11, v17, v10 :: v_dual_add_f32 v10, v16, v15
	v_add_f32_e32 v12, v18, v12
	ds_store_2addr_b64 v19, v[0:1], v[2:3] offset1:1
	ds_store_2addr_b64 v19, v[8:9], v[6:7] offset0:2 offset1:3
	ds_store_2addr_b64 v19, v[10:11], v[4:5] offset0:4 offset1:5
	;; [unrolled: 1-line block ×7, first 2 shown]
	ds_store_b64 v19, v[30:31] offset:128
.LBB0_7:
	s_wait_alu 0xfffe
	s_or_b32 exec_lo, exec_lo, s2
	v_lshlrev_b32_e32 v0, 4, v140
	v_add_nc_u16 v4, v140, 34
	global_wb scope:SCOPE_SE
	s_wait_dscnt 0x0
	s_barrier_signal -1
	s_barrier_wait -1
	global_inv scope:SCOPE_SE
	global_load_b128 v[0:3], v0, s[0:1]
	v_add_nc_u16 v6, v140, 0x44
	v_add_nc_u16 v7, v140, 0x55
	v_and_b32_e32 v9, 0xff, v4
	v_add_nc_u16 v10, v140, 0x77
	v_add_nc_u16 v5, v140, 51
	v_and_b32_e32 v12, 0xff, v6
	v_and_b32_e32 v13, 0xff, v7
	v_mul_lo_u16 v9, 0xf1, v9
	v_and_b32_e32 v15, 0xff, v10
	v_and_b32_e32 v11, 0xff, v5
	v_mul_lo_u16 v12, 0xf1, v12
	v_mul_lo_u16 v13, 0xf1, v13
	v_lshrrev_b16 v9, 12, v9
	v_mul_lo_u16 v15, 0xf1, v15
	v_mul_lo_u16 v11, 0xf1, v11
	v_lshrrev_b16 v12, 12, v12
	v_lshrrev_b16 v13, 12, v13
	v_mul_lo_u16 v9, v9, 17
	v_add_nc_u16 v8, v140, 0x66
	v_lshrrev_b16 v11, 12, v11
	v_mad_co_u64_u32 v[82:83], null, v140, 56, s[0:1]
	s_delay_alu instid0(VALU_DEP_4)
	v_sub_nc_u16 v84, v4, v9
	v_lshrrev_b16 v4, 12, v15
	v_mul_lo_u16 v9, v12, 17
	v_mul_lo_u16 v12, v13, 17
	v_and_b32_e32 v14, 0xff, v8
	v_mul_lo_u16 v11, v11, 17
	v_mul_lo_u16 v4, v4, 17
	v_sub_nc_u16 v86, v6, v9
	v_sub_nc_u16 v87, v7, v12
	v_mul_lo_u16 v14, 0xf1, v14
	v_sub_nc_u16 v85, v5, v11
	v_sub_nc_u16 v89, v10, v4
	v_lshlrev_b16 v5, 1, v84
	v_lshlrev_b16 v4, 1, v87
	v_lshrrev_b16 v14, 12, v14
	v_lshlrev_b16 v6, 1, v85
	v_lshlrev_b16 v7, 1, v86
	v_and_b32_e32 v87, 0xff, v87
	v_and_b32_e32 v4, 0xfe, v4
	v_mul_lo_u16 v11, v14, 17
	v_lshl_add_u32 v190, v73, 3, v72
	s_delay_alu instid0(VALU_DEP_4) | instskip(NEXT) | instid1(VALU_DEP_4)
	v_lshl_add_u32 v169, v87, 3, v116
	v_lshlrev_b32_e32 v4, 3, v4
	s_delay_alu instid0(VALU_DEP_4) | instskip(SKIP_4) | instid1(VALU_DEP_3)
	v_sub_nc_u16 v88, v8, v11
	global_load_b128 v[12:15], v4, s[0:1]
	v_and_b32_e32 v5, 0xfe, v5
	v_and_b32_e32 v6, 0xfe, v6
	;; [unrolled: 1-line block ×3, first 2 shown]
	v_lshlrev_b32_e32 v5, 3, v5
	s_delay_alu instid0(VALU_DEP_3) | instskip(NEXT) | instid1(VALU_DEP_3)
	v_lshlrev_b32_e32 v6, 3, v6
	v_lshlrev_b32_e32 v7, 3, v7
	s_clause 0x1
	global_load_b128 v[24:27], v5, s[0:1]
	global_load_b128 v[20:23], v6, s[0:1]
	v_lshlrev_b16 v5, 1, v88
	v_lshlrev_b16 v6, 1, v89
	global_load_b128 v[16:19], v7, s[0:1]
	v_and_b32_e32 v5, 0xfe, v5
	v_and_b32_e32 v6, 0xfe, v6
	s_delay_alu instid0(VALU_DEP_2) | instskip(NEXT) | instid1(VALU_DEP_2)
	v_lshlrev_b32_e32 v5, 3, v5
	v_lshlrev_b32_e32 v4, 3, v6
	s_clause 0x1
	global_load_b128 v[8:11], v5, s[0:1]
	global_load_b128 v[4:7], v4, s[0:1]
	ds_load_2addr_b64 v[32:35], v175 offset1:17
	ds_load_2addr_b64 v[36:39], v175 offset0:136 offset1:153
	ds_load_2addr_b64 v[40:43], v175 offset0:34 offset1:51
	;; [unrolled: 1-line block ×7, first 2 shown]
	s_add_nc_u64 s[0:1], s[12:13], 0xcc0
	s_wait_loadcnt_dscnt 0x606
	v_mul_f32_e32 v92, v38, v1
	v_mul_f32_e32 v91, v39, v1
	s_delay_alu instid0(VALU_DEP_2) | instskip(SKIP_2) | instid1(VALU_DEP_4)
	v_dual_mul_f32 v87, v37, v1 :: v_dual_fmac_f32 v92, v39, v0
	v_add_nc_u32_e32 v104, 0x800, v175
	v_and_b32_e32 v86, 0xff, v86
	v_fma_f32 v38, v38, v0, -v91
	ds_load_2addr_b64 v[64:67], v104 offset0:16 offset1:33
	ds_load_2addr_b64 v[68:71], v104 offset0:50 offset1:67
	;; [unrolled: 1-line block ×4, first 2 shown]
	v_add_f32_e32 v95, v35, v92
	v_lshl_add_u32 v182, v86, 3, v116
	global_wb scope:SCOPE_SE
	s_wait_loadcnt_dscnt 0x0
	s_barrier_signal -1
	s_barrier_wait -1
	global_inv scope:SCOPE_SE
	v_mul_f32_e32 v93, v67, v3
	v_mul_f32_e32 v94, v66, v3
	;; [unrolled: 1-line block ×3, first 2 shown]
	s_delay_alu instid0(VALU_DEP_3) | instskip(NEXT) | instid1(VALU_DEP_3)
	v_fma_f32 v39, v66, v2, -v93
	v_dual_fmac_f32 v94, v67, v2 :: v_dual_and_b32 v89, 0xff, v89
	v_and_b32_e32 v88, 0xff, v88
	s_delay_alu instid0(VALU_DEP_4) | instskip(NEXT) | instid1(VALU_DEP_4)
	v_fmac_f32_e32 v90, v65, v2
	v_sub_f32_e32 v96, v38, v39
	s_delay_alu instid0(VALU_DEP_4)
	v_lshl_add_u32 v149, v89, 3, v116
	v_mul_f32_e32 v89, v65, v3
	v_lshl_add_u32 v150, v88, 3, v116
	v_mul_f32_e32 v88, v36, v1
	v_fma_f32 v36, v36, v0, -v87
	v_and_b32_e32 v85, 0xff, v85
	v_add_f32_e32 v91, v38, v39
	v_sub_f32_e32 v93, v92, v94
	v_add_f32_e32 v92, v92, v94
	v_fmac_f32_e32 v88, v37, v0
	v_fma_f32 v37, v64, v2, -v89
	v_dual_add_f32 v64, v32, v36 :: v_dual_add_f32 v89, v34, v38
	v_lshl_add_u32 v179, v85, 3, v116
	s_delay_alu instid0(VALU_DEP_4) | instskip(NEXT) | instid1(VALU_DEP_4)
	v_add_f32_e32 v87, v88, v90
	v_add_f32_e32 v65, v36, v37
	;; [unrolled: 1-line block ×3, first 2 shown]
	v_and_b32_e32 v84, 0xff, v84
	v_sub_f32_e32 v66, v88, v90
	v_sub_f32_e32 v88, v36, v37
	v_fma_f32 v32, -0.5, v65, v32
	v_fma_f32 v33, -0.5, v87, v33
	v_dual_add_f32 v36, v64, v37 :: v_dual_add_nc_u32 v85, 0x800, v150
	v_add_f32_e32 v37, v67, v90
	v_lshl_add_u32 v170, v84, 3, v116
	v_dual_fmac_f32 v35, -0.5, v92 :: v_dual_add_nc_u32 v84, 0x400, v169
	v_fma_f32 v34, -0.5, v91, v34
	v_dual_add_f32 v38, v89, v39 :: v_dual_fmamk_f32 v65, v88, 0xbf5db3d7, v33
	v_dual_fmamk_f32 v64, v66, 0x3f5db3d7, v32 :: v_dual_fmac_f32 v33, 0x3f5db3d7, v88
	v_add_f32_e32 v39, v95, v94
	v_dual_fmac_f32 v32, 0xbf5db3d7, v66 :: v_dual_fmamk_f32 v67, v96, 0xbf5db3d7, v35
	v_dual_fmamk_f32 v66, v93, 0x3f5db3d7, v34 :: v_dual_fmac_f32 v35, 0x3f5db3d7, v96
	v_fmac_f32_e32 v34, 0xbf5db3d7, v93
	v_add_nc_u32_e32 v86, 0x800, v149
	ds_store_2addr_b64 v175, v[36:37], v[64:65] offset1:17
	ds_store_2addr_b64 v175, v[32:33], v[38:39] offset0:34 offset1:51
	ds_store_2addr_b64 v175, v[66:67], v[34:35] offset0:68 offset1:85
	v_dual_mul_f32 v35, v68, v27 :: v_dual_mul_f32 v32, v45, v25
	v_mul_f32_e32 v67, v74, v19
	v_dual_mul_f32 v33, v44, v25 :: v_dual_mul_f32 v34, v69, v27
	v_dual_mul_f32 v36, v47, v21 :: v_dual_mul_f32 v89, v77, v15
	;; [unrolled: 1-line block ×4, first 2 shown]
	v_mul_f32_e32 v93, v79, v11
	v_dual_mul_f32 v65, v52, v17 :: v_dual_mul_f32 v66, v75, v19
	v_dual_mul_f32 v87, v55, v13 :: v_dual_mul_f32 v90, v76, v15
	;; [unrolled: 1-line block ×4, first 2 shown]
	v_dual_mul_f32 v92, v60, v9 :: v_dual_fmac_f32 v33, v45, v24
	v_dual_mul_f32 v95, v63, v5 :: v_dual_mul_f32 v98, v80, v7
	v_dual_mul_f32 v96, v62, v5 :: v_dual_fmac_f32 v35, v69, v26
	v_fma_f32 v32, v44, v24, -v32
	v_fma_f32 v34, v68, v26, -v34
	;; [unrolled: 1-line block ×3, first 2 shown]
	v_dual_fmac_f32 v37, v47, v20 :: v_dual_fmac_f32 v90, v77, v14
	v_fma_f32 v38, v70, v22, -v38
	v_dual_fmac_f32 v39, v71, v22 :: v_dual_fmac_f32 v92, v61, v8
	v_fma_f32 v44, v52, v16, -v64
	;; [unrolled: 2-line block ×3, first 2 shown]
	v_fmac_f32_e32 v67, v75, v18
	v_fma_f32 v46, v54, v12, -v87
	v_dual_fmac_f32 v88, v55, v12 :: v_dual_add_f32 v61, v32, v34
	v_fma_f32 v47, v76, v14, -v89
	v_fma_f32 v52, v60, v8, -v91
	;; [unrolled: 1-line block ×4, first 2 shown]
	v_dual_fmac_f32 v96, v63, v4 :: v_dual_add_f32 v63, v41, v33
	v_fma_f32 v55, v80, v6, -v97
	v_dual_fmac_f32 v98, v81, v6 :: v_dual_add_f32 v71, v43, v37
	v_add_f32_e32 v60, v40, v32
	v_dual_add_f32 v64, v33, v35 :: v_dual_sub_f32 v75, v36, v38
	v_dual_sub_f32 v62, v33, v35 :: v_dual_add_f32 v69, v36, v38
	v_dual_add_f32 v74, v37, v39 :: v_dual_add_f32 v89, v51, v88
	v_dual_sub_f32 v66, v32, v34 :: v_dual_add_f32 v79, v49, v65
	v_dual_add_f32 v68, v42, v36 :: v_dual_add_f32 v77, v44, v45
	v_add_f32_e32 v76, v48, v44
	v_dual_sub_f32 v78, v65, v67 :: v_dual_add_f32 v93, v52, v53
	v_add_f32_e32 v65, v65, v67
	v_dual_sub_f32 v70, v37, v39 :: v_dual_sub_f32 v87, v88, v90
	v_dual_sub_f32 v80, v44, v45 :: v_dual_add_f32 v81, v46, v47
	v_dual_add_f32 v88, v88, v90 :: v_dual_sub_f32 v91, v46, v47
	v_dual_add_f32 v44, v50, v46 :: v_dual_add_f32 v97, v57, v92
	v_dual_sub_f32 v95, v92, v94 :: v_dual_add_f32 v100, v54, v55
	v_dual_add_f32 v92, v92, v94 :: v_dual_add_f32 v33, v63, v35
	v_dual_sub_f32 v101, v96, v98 :: v_dual_add_f32 v102, v59, v96
	v_dual_add_f32 v96, v96, v98 :: v_dual_add_f32 v37, v71, v39
	v_dual_add_f32 v46, v56, v52 :: v_dual_sub_f32 v103, v54, v55
	v_dual_sub_f32 v99, v52, v53 :: v_dual_add_f32 v52, v58, v54
	v_dual_add_f32 v32, v60, v34 :: v_dual_add_f32 v39, v79, v67
	v_fma_f32 v34, -0.5, v61, v40
	v_fma_f32 v35, -0.5, v64, v41
	v_fma_f32 v42, -0.5, v69, v42
	v_fmac_f32_e32 v43, -0.5, v74
	v_fma_f32 v40, -0.5, v77, v48
	v_fma_f32 v41, -0.5, v65, v49
	v_dual_add_f32 v36, v68, v38 :: v_dual_fmac_f32 v51, -0.5, v88
	v_fma_f32 v50, -0.5, v81, v50
	v_fma_f32 v48, -0.5, v93, v56
	;; [unrolled: 1-line block ×4, first 2 shown]
	v_dual_fmac_f32 v59, -0.5, v96 :: v_dual_fmamk_f32 v54, v62, 0x3f5db3d7, v34
	v_add_f32_e32 v52, v52, v55
	v_dual_fmac_f32 v34, 0xbf5db3d7, v62 :: v_dual_fmamk_f32 v55, v66, 0xbf5db3d7, v35
	v_dual_add_f32 v38, v76, v45 :: v_dual_fmac_f32 v35, 0x3f5db3d7, v66
	v_fmamk_f32 v56, v70, 0x3f5db3d7, v42
	v_dual_fmac_f32 v42, 0xbf5db3d7, v70 :: v_dual_fmamk_f32 v57, v75, 0xbf5db3d7, v43
	v_dual_fmac_f32 v43, 0x3f5db3d7, v75 :: v_dual_fmamk_f32 v60, v78, 0x3f5db3d7, v40
	;; [unrolled: 1-line block ×3, first 2 shown]
	v_dual_add_f32 v44, v44, v47 :: v_dual_add_f32 v45, v89, v90
	v_dual_fmac_f32 v41, 0x3f5db3d7, v80 :: v_dual_fmamk_f32 v62, v87, 0x3f5db3d7, v50
	v_dual_fmac_f32 v50, 0xbf5db3d7, v87 :: v_dual_fmamk_f32 v63, v91, 0xbf5db3d7, v51
	v_dual_add_f32 v46, v46, v53 :: v_dual_add_f32 v47, v97, v94
	v_add_f32_e32 v53, v102, v98
	v_dual_fmac_f32 v51, 0x3f5db3d7, v91 :: v_dual_fmamk_f32 v64, v95, 0x3f5db3d7, v48
	v_dual_fmac_f32 v48, 0xbf5db3d7, v95 :: v_dual_fmamk_f32 v65, v99, 0xbf5db3d7, v49
	;; [unrolled: 1-line block ×4, first 2 shown]
	v_dual_fmac_f32 v59, 0x3f5db3d7, v103 :: v_dual_lshlrev_b32 v80, 3, v140
	ds_store_2addr_b64 v170, v[32:33], v[54:55] offset0:102 offset1:119
	ds_store_2addr_b64 v179, v[36:37], v[56:57] offset0:153 offset1:170
	;; [unrolled: 1-line block ×4, first 2 shown]
	ds_store_b64 v170, v[34:35] offset:1088
	ds_store_b64 v179, v[42:43] offset:1496
	;; [unrolled: 1-line block ×4, first 2 shown]
	ds_store_2addr_b64 v85, v[46:47], v[64:65] offset0:50 offset1:67
	ds_store_2addr_b64 v86, v[52:53], v[66:67] offset0:101 offset1:118
	ds_store_b64 v150, v[48:49] offset:2720
	ds_store_b64 v149, v[58:59] offset:3128
	global_wb scope:SCOPE_SE
	s_wait_dscnt 0x0
	s_barrier_signal -1
	s_barrier_wait -1
	global_inv scope:SCOPE_SE
	s_clause 0xb
	global_load_b128 v[64:67], v[82:83], off offset:272
	global_load_b128 v[52:55], v[82:83], off offset:288
	global_load_b128 v[40:43], v[82:83], off offset:304
	global_load_b64 v[153:154], v[82:83], off offset:320
	global_load_b128 v[60:63], v[82:83], off offset:1224
	global_load_b128 v[48:51], v[82:83], off offset:1240
	global_load_b128 v[36:39], v[82:83], off offset:1256
	global_load_b64 v[151:152], v[82:83], off offset:1272
	;; [unrolled: 4-line block ×3, first 2 shown]
	ds_load_2addr_b64 v[68:71], v175 offset0:34 offset1:51
	ds_load_2addr_b64 v[74:77], v175 offset0:102 offset1:119
	;; [unrolled: 1-line block ×8, first 2 shown]
	ds_load_2addr_b64 v[191:194], v175 offset1:17
	ds_load_2addr_b64 v[195:198], v175 offset0:170 offset1:187
	ds_load_2addr_b64 v[199:202], v104 offset0:16 offset1:33
	;; [unrolled: 1-line block ×3, first 2 shown]
	v_add_nc_u32_e32 v88, 0x400, v175
	s_wait_loadcnt_dscnt 0xb0b
	v_dual_mul_f32 v72, v71, v65 :: v_dual_add_nc_u32 v87, 0x800, v190
	s_wait_dscnt 0xa
	v_dual_mul_f32 v73, v70, v65 :: v_dual_mul_f32 v78, v75, v67
	s_wait_loadcnt_dscnt 0xa09
	v_mul_f32_e32 v85, v84, v53
	v_dual_mul_f32 v79, v74, v67 :: v_dual_mul_f32 v86, v83, v53
	s_wait_loadcnt_dscnt 0x907
	v_dual_mul_f32 v102, v89, v55 :: v_dual_mul_f32 v103, v96, v41
	s_wait_dscnt 0x6
	v_dual_mul_f32 v109, v95, v41 :: v_dual_mul_f32 v110, v98, v43
	s_wait_loadcnt_dscnt 0x705
	v_dual_mul_f32 v111, v97, v43 :: v_dual_mul_f32 v210, v171, v61
	s_wait_loadcnt 0x6
	v_dual_mul_f32 v209, v172, v61 :: v_dual_mul_f32 v216, v91, v51
	s_wait_loadcnt 0x3
	v_dual_mul_f32 v212, v76, v63 :: v_dual_mul_f32 v223, v174, v57
	s_wait_dscnt 0x2
	v_dual_mul_f32 v213, v196, v49 :: v_dual_mul_f32 v220, v99, v39
	s_wait_dscnt 0x0
	v_dual_mul_f32 v215, v92, v51 :: v_dual_mul_f32 v222, v203, v152
	v_dual_mul_f32 v101, v90, v55 :: v_dual_mul_f32 v208, v107, v154
	;; [unrolled: 1-line block ×6, first 2 shown]
	s_wait_loadcnt 0x1
	v_dual_mul_f32 v225, v82, v59 :: v_dual_mul_f32 v232, v201, v33
	s_wait_loadcnt 0x0
	v_dual_mul_f32 v229, v94, v47 :: v_dual_mul_f32 v236, v205, v181
	v_dual_mul_f32 v231, v202, v33 :: v_dual_mul_f32 v234, v105, v35
	v_dual_mul_f32 v233, v106, v35 :: v_dual_fmac_f32 v86, v84, v52
	v_fma_f32 v70, v70, v64, -v72
	v_dual_fmac_f32 v73, v71, v64 :: v_dual_fmac_f32 v102, v90, v54
	v_dual_fmac_f32 v79, v75, v66 :: v_dual_fmac_f32 v208, v108, v153
	v_fma_f32 v72, v83, v52, -v85
	v_fma_f32 v75, v95, v40, -v103
	v_dual_fmac_f32 v109, v96, v40 :: v_dual_fmac_f32 v212, v77, v62
	v_dual_fmac_f32 v111, v98, v42 :: v_dual_fmac_f32 v214, v196, v48
	v_fma_f32 v85, v91, v50, -v215
	s_delay_alu instid0(VALU_DEP_4)
	v_dual_fmac_f32 v216, v92, v50 :: v_dual_sub_f32 v75, v70, v75
	v_fmac_f32_e32 v220, v100, v38
	v_dual_mul_f32 v221, v204, v152 :: v_dual_mul_f32 v228, v197, v45
	v_dual_mul_f32 v227, v198, v45 :: v_dual_mul_f32 v230, v93, v47
	v_dual_mul_f32 v235, v206, v181 :: v_dual_fmac_f32 v210, v172, v60
	v_fma_f32 v71, v74, v66, -v78
	v_fma_f32 v74, v89, v54, -v101
	;; [unrolled: 1-line block ×6, first 2 shown]
	v_fmac_f32_e32 v218, v200, v36
	v_fma_f32 v90, v99, v38, -v219
	v_dual_sub_f32 v99, v73, v109 :: v_dual_fmac_f32 v222, v204, v151
	v_sub_f32_e32 v101, v194, v216
	v_dual_fmac_f32 v224, v174, v56 :: v_dual_sub_f32 v97, v192, v102
	v_fma_f32 v81, v81, v58, -v225
	v_dual_fmac_f32 v226, v82, v58 :: v_dual_sub_f32 v83, v72, v83
	v_fma_f32 v93, v93, v46, -v229
	v_fmac_f32_e32 v232, v202, v32
	v_fma_f32 v95, v105, v34, -v233
	v_fmac_f32_e32 v234, v106, v34
	v_dual_sub_f32 v98, v79, v111 :: v_dual_sub_f32 v103, v210, v218
	v_dual_sub_f32 v85, v193, v85 :: v_dual_sub_f32 v102, v212, v220
	v_sub_f32_e32 v105, v214, v222
	v_fma_f32 v76, v76, v62, -v211
	v_fma_f32 v77, v195, v48, -v213
	;; [unrolled: 1-line block ×4, first 2 shown]
	v_dual_fmac_f32 v228, v198, v44 :: v_dual_sub_f32 v89, v84, v89
	s_delay_alu instid0(VALU_DEP_3)
	v_dual_fmac_f32 v230, v94, v46 :: v_dual_sub_f32 v91, v77, v91
	v_fma_f32 v94, v201, v32, -v231
	v_dual_fmac_f32 v236, v206, v180 :: v_dual_sub_f32 v93, v68, v93
	v_sub_f32_e32 v95, v81, v95
	v_dual_sub_f32 v107, v226, v234 :: v_dual_sub_f32 v108, v224, v232
	v_sub_f32_e32 v78, v71, v78
	v_fma_f32 v111, v192, 2.0, -v97
	v_fma_f32 v79, v79, 2.0, -v98
	;; [unrolled: 1-line block ×3, first 2 shown]
	v_sub_f32_e32 v193, v85, v102
	v_dual_sub_f32 v74, v191, v74 :: v_dual_sub_f32 v109, v228, v236
	v_fma_f32 v82, v197, v44, -v227
	v_sub_f32_e32 v100, v86, v208
	v_dual_sub_f32 v94, v92, v94 :: v_dual_sub_f32 v79, v111, v79
	v_sub_f32_e32 v90, v76, v90
	v_fma_f32 v110, v191, 2.0, -v74
	v_sub_f32_e32 v197, v93, v107
	v_fma_f32 v71, v71, 2.0, -v78
	v_sub_f32_e32 v106, v69, v230
	v_fma_f32 v96, v205, v180, -v235
	v_fma_f32 v171, v70, 2.0, -v75
	v_fma_f32 v70, v72, 2.0, -v83
	;; [unrolled: 1-line block ×7, first 2 shown]
	v_sub_f32_e32 v172, v74, v98
	v_sub_f32_e32 v98, v75, v100
	v_fma_f32 v86, v81, 2.0, -v95
	v_fma_f32 v195, v92, 2.0, -v94
	v_add_f32_e32 v198, v106, v95
	v_sub_f32_e32 v95, v94, v109
	v_fma_f32 v76, v76, 2.0, -v90
	v_add_f32_e32 v194, v101, v90
	v_fma_f32 v90, v226, 2.0, -v107
	v_sub_f32_e32 v107, v110, v71
	v_fma_f32 v69, v69, 2.0, -v106
	v_add_f32_e32 v100, v99, v83
	v_fma_f32 v83, v212, 2.0, -v102
	v_sub_f32_e32 v102, v89, v105
	v_fma_f32 v77, v77, 2.0, -v91
	v_dual_sub_f32 v96, v82, v96 :: v_dual_add_f32 v105, v103, v91
	s_delay_alu instid0(VALU_DEP_4) | instskip(NEXT) | instid1(VALU_DEP_4)
	v_sub_f32_e32 v200, v174, v83
	v_dual_fmamk_f32 v83, v102, 0x3f3504f3, v193 :: v_dual_add_f32 v78, v97, v78
	v_fma_f32 v92, v228, 2.0, -v109
	v_fma_f32 v201, v85, 2.0, -v193
	;; [unrolled: 1-line block ×6, first 2 shown]
	v_sub_f32_e32 v75, v191, v77
	v_fma_f32 v91, v82, 2.0, -v96
	v_add_f32_e32 v96, v108, v96
	v_sub_f32_e32 v77, v192, v84
	v_fma_f32 v109, v74, 2.0, -v172
	v_fma_f32 v196, v224, 2.0, -v108
	v_dual_sub_f32 v76, v173, v76 :: v_dual_fmac_f32 v83, 0xbf3504f3, v105
	v_fmamk_f32 v81, v98, 0x3f3504f3, v172
	s_delay_alu instid0(VALU_DEP_4)
	v_fmamk_f32 v85, v97, 0xbf3504f3, v109
	v_fmamk_f32 v71, v96, 0x3f3504f3, v198
	v_fma_f32 v203, v89, 2.0, -v102
	v_sub_f32_e32 v205, v69, v90
	v_dual_sub_f32 v74, v171, v70 :: v_dual_fmac_f32 v81, 0xbf3504f3, v100
	v_fma_f32 v99, v99, 2.0, -v100
	v_sub_f32_e32 v72, v73, v72
	v_fma_f32 v202, v101, 2.0, -v194
	v_fma_f32 v207, v106, 2.0, -v198
	v_sub_f32_e32 v101, v195, v91
	v_fmamk_f32 v91, v203, 0xbf3504f3, v201
	v_fma_f32 v209, v108, 2.0, -v96
	v_sub_f32_e32 v204, v68, v86
	v_dual_sub_f32 v106, v196, v92 :: v_dual_fmac_f32 v85, 0xbf3504f3, v99
	v_fma_f32 v103, v103, 2.0, -v105
	v_fma_f32 v206, v93, 2.0, -v197
	;; [unrolled: 1-line block ×3, first 2 shown]
	v_sub_f32_e32 v93, v76, v77
	v_dual_fmamk_f32 v82, v100, 0x3f3504f3, v78 :: v_dual_sub_f32 v89, v107, v72
	v_fma_f32 v110, v110, 2.0, -v107
	v_fma_f32 v108, v171, 2.0, -v74
	v_fmamk_f32 v86, v99, 0xbf3504f3, v199
	v_dual_fmamk_f32 v84, v105, 0x3f3504f3, v194 :: v_dual_fmac_f32 v71, 0x3f3504f3, v95
	s_delay_alu instid0(VALU_DEP_3)
	v_dual_fmamk_f32 v70, v95, 0x3f3504f3, v197 :: v_dual_sub_f32 v95, v110, v108
	v_fma_f32 v111, v111, 2.0, -v79
	v_fma_f32 v73, v73, 2.0, -v72
	;; [unrolled: 1-line block ×5, first 2 shown]
	v_dual_add_f32 v94, v200, v75 :: v_dual_fmamk_f32 v75, v209, 0xbf3504f3, v207
	v_fma_f32 v174, v174, 2.0, -v200
	v_fma_f32 v211, v69, 2.0, -v205
	;; [unrolled: 1-line block ×4, first 2 shown]
	v_fmac_f32_e32 v75, 0x3f3504f3, v208
	v_add_f32_e32 v69, v205, v101
	v_fma_f32 v210, v68, 2.0, -v204
	v_dual_add_f32 v90, v79, v74 :: v_dual_fmac_f32 v91, 0xbf3504f3, v103
	v_dual_fmac_f32 v82, 0x3f3504f3, v98 :: v_dual_sub_f32 v101, v171, v72
	v_fmamk_f32 v92, v103, 0xbf3504f3, v202
	v_fmamk_f32 v74, v208, 0xbf3504f3, v206
	v_fmac_f32_e32 v86, 0x3f3504f3, v97
	v_fmac_f32_e32 v84, 0x3f3504f3, v102
	;; [unrolled: 1-line block ×3, first 2 shown]
	v_sub_f32_e32 v96, v111, v73
	v_sub_f32_e32 v102, v174, v173
	v_dual_sub_f32 v72, v210, v77 :: v_dual_sub_f32 v73, v211, v191
	v_sub_f32_e32 v68, v204, v106
	v_fma_f32 v99, v172, 2.0, -v81
	v_fma_f32 v100, v78, 2.0, -v82
	v_fmac_f32_e32 v92, 0x3f3504f3, v203
	v_fmac_f32_e32 v74, 0xbf3504f3, v209
	v_fma_f32 v97, v107, 2.0, -v89
	v_fma_f32 v98, v79, 2.0, -v90
	ds_store_b64 v175, v[81:82] offset:2856
	v_fma_f32 v81, v110, 2.0, -v95
	v_fma_f32 v109, v109, 2.0, -v85
	;; [unrolled: 1-line block ×20, first 2 shown]
	ds_store_2addr_b64 v175, v[99:100], v[95:96] offset0:153 offset1:204
	ds_store_2addr_b64 v88, v[85:86], v[89:90] offset0:127 offset1:178
	;; [unrolled: 1-line block ×3, first 2 shown]
	ds_store_2addr_b64 v175, v[81:82], v[173:174] offset1:17
	ds_store_b64 v175, v[193:194] offset:272
	ds_store_2addr_b64 v190, v[191:192], v[171:172] offset0:68 offset1:85
	ds_store_2addr_b64 v190, v[105:106], v[76:77] offset0:119 offset1:136
	;; [unrolled: 1-line block ×7, first 2 shown]
	global_wb scope:SCOPE_SE
	s_wait_dscnt 0x0
	s_barrier_signal -1
	s_barrier_wait -1
	global_inv scope:SCOPE_SE
	s_clause 0x10
	global_load_b64 v[85:86], v[112:113], off offset:3264
	global_load_b64 v[101:102], v80, s[0:1] offset:192
	global_load_b64 v[109:110], v80, s[0:1] offset:384
	;; [unrolled: 1-line block ×16, first 2 shown]
	ds_load_2addr_b64 v[81:84], v175 offset1:24
	ds_load_2addr_b64 v[89:92], v175 offset0:48 offset1:72
	ds_load_2addr_b64 v[93:96], v175 offset0:96 offset1:120
	;; [unrolled: 1-line block ×7, first 2 shown]
	ds_load_b64 v[229:230], v175 offset:3072
	s_wait_loadcnt_dscnt 0x1008
	v_mul_f32_e32 v231, v82, v86
	v_mul_f32_e32 v87, v81, v86
	s_wait_loadcnt 0xf
	v_mul_f32_e32 v233, v84, v102
	v_mul_f32_e32 v103, v83, v102
	s_wait_loadcnt_dscnt 0xe07
	v_mul_f32_e32 v234, v90, v110
	v_mul_f32_e32 v111, v89, v110
	s_wait_loadcnt 0xd
	v_mul_f32_e32 v235, v92, v174
	v_mul_f32_e32 v232, v91, v174
	s_wait_loadcnt_dscnt 0xc06
	v_mul_f32_e32 v236, v94, v204
	s_wait_loadcnt 0xb
	v_dual_mul_f32 v174, v93, v204 :: v_dual_mul_f32 v237, v96, v206
	v_mul_f32_e32 v204, v95, v206
	s_wait_loadcnt_dscnt 0xa05
	v_mul_f32_e32 v238, v98, v208
	s_wait_loadcnt_dscnt 0x302
	v_dual_mul_f32 v245, v198, v222 :: v_dual_mul_f32 v206, v97, v208
	s_wait_loadcnt_dscnt 0x101
	v_mul_f32_e32 v247, v202, v226
	v_mul_f32_e32 v239, v100, v210
	;; [unrolled: 1-line block ×4, first 2 shown]
	v_dual_mul_f32 v210, v105, v212 :: v_dual_mul_f32 v241, v108, v214
	v_mul_f32_e32 v212, v107, v214
	v_mul_f32_e32 v242, v192, v216
	v_dual_mul_f32 v214, v191, v216 :: v_dual_mul_f32 v243, v194, v218
	v_mul_f32_e32 v216, v193, v218
	v_mul_f32_e32 v244, v196, v220
	;; [unrolled: 1-line block ×7, first 2 shown]
	s_wait_loadcnt_dscnt 0x0
	v_mul_f32_e32 v248, v230, v228
	v_mul_f32_e32 v226, v229, v228
	v_fma_f32 v86, v81, v85, -v231
	v_fmac_f32_e32 v87, v82, v85
	v_fma_f32 v102, v83, v101, -v233
	v_fmac_f32_e32 v103, v84, v101
	v_fma_f32 v110, v89, v109, -v234
	v_fmac_f32_e32 v111, v90, v109
	v_fma_f32 v231, v91, v173, -v235
	v_fmac_f32_e32 v232, v92, v173
	v_fma_f32 v173, v93, v203, -v236
	v_fmac_f32_e32 v174, v94, v203
	v_fma_f32 v203, v95, v205, -v237
	v_fmac_f32_e32 v204, v96, v205
	v_fma_f32 v205, v97, v207, -v238
	v_fmac_f32_e32 v206, v98, v207
	v_fma_f32 v207, v99, v209, -v239
	v_fmac_f32_e32 v208, v100, v209
	v_fma_f32 v209, v105, v211, -v240
	v_fmac_f32_e32 v210, v106, v211
	v_fma_f32 v211, v107, v213, -v241
	v_fmac_f32_e32 v212, v108, v213
	v_fma_f32 v213, v191, v215, -v242
	v_fmac_f32_e32 v214, v192, v215
	v_fma_f32 v215, v193, v217, -v243
	v_fmac_f32_e32 v216, v194, v217
	v_fma_f32 v217, v195, v219, -v244
	v_fmac_f32_e32 v218, v196, v219
	v_fma_f32 v219, v197, v221, -v245
	v_fmac_f32_e32 v220, v198, v221
	v_fma_f32 v221, v199, v223, -v246
	v_fmac_f32_e32 v222, v200, v223
	v_fma_f32 v223, v201, v225, -v247
	v_fmac_f32_e32 v224, v202, v225
	v_fma_f32 v225, v229, v227, -v248
	v_fmac_f32_e32 v226, v230, v227
	ds_store_2addr_b64 v175, v[86:87], v[102:103] offset1:24
	ds_store_2addr_b64 v175, v[110:111], v[231:232] offset0:48 offset1:72
	ds_store_2addr_b64 v175, v[173:174], v[203:204] offset0:96 offset1:120
	;; [unrolled: 1-line block ×7, first 2 shown]
	ds_store_b64 v175, v[225:226] offset:3072
	s_and_saveexec_b32 s2, vcc_lo
	s_cbranch_execz .LBB0_9
; %bb.8:
	s_wait_alu 0xfffe
	v_add_co_u32 v80, s0, s0, v80
	s_wait_alu 0xf1ff
	v_add_co_ci_u32_e64 v81, null, s1, 0, s0
	s_clause 0x10
	global_load_b64 v[101:102], v[80:81], off offset:136
	global_load_b64 v[109:110], v[80:81], off offset:328
	;; [unrolled: 1-line block ×17, first 2 shown]
	ds_load_2addr_b64 v[80:83], v175 offset0:17 offset1:41
	ds_load_2addr_b64 v[84:87], v175 offset0:65 offset1:89
	;; [unrolled: 1-line block ×8, first 2 shown]
	ds_load_b64 v[227:228], v175 offset:3208
	s_wait_loadcnt_dscnt 0x1008
	v_mul_f32_e32 v229, v81, v102
	v_mul_f32_e32 v103, v80, v102
	s_wait_loadcnt 0xf
	v_mul_f32_e32 v231, v83, v110
	v_mul_f32_e32 v111, v82, v110
	s_wait_loadcnt_dscnt 0xd07
	v_dual_mul_f32 v232, v85, v174 :: v_dual_mul_f32 v233, v87, v200
	v_mul_f32_e32 v230, v84, v174
	v_mul_f32_e32 v174, v86, v200
	s_wait_loadcnt_dscnt 0xb06
	v_dual_mul_f32 v234, v90, v202 :: v_dual_mul_f32 v235, v92, v204
	s_wait_loadcnt_dscnt 0x905
	v_dual_mul_f32 v200, v89, v202 :: v_dual_mul_f32 v237, v96, v208
	v_mul_f32_e32 v202, v91, v204
	s_wait_loadcnt_dscnt 0x704
	v_dual_mul_f32 v236, v94, v206 :: v_dual_mul_f32 v239, v100, v212
	s_wait_loadcnt_dscnt 0x503
	v_dual_mul_f32 v204, v93, v206 :: v_dual_mul_f32 v241, v108, v216
	v_mul_f32_e32 v206, v95, v208
	v_dual_mul_f32 v238, v98, v210 :: v_dual_fmac_f32 v103, v81, v101
	s_wait_loadcnt_dscnt 0x101
	v_dual_mul_f32 v208, v97, v210 :: v_dual_mul_f32 v245, v198, v224
	v_mul_f32_e32 v210, v99, v212
	v_dual_mul_f32 v240, v106, v214 :: v_dual_fmac_f32 v111, v83, v109
	v_mul_f32_e32 v212, v105, v214
	v_mul_f32_e32 v214, v107, v216
	;; [unrolled: 1-line block ×3, first 2 shown]
	v_dual_mul_f32 v216, v191, v218 :: v_dual_mul_f32 v243, v194, v220
	v_mul_f32_e32 v218, v193, v220
	v_mul_f32_e32 v244, v196, v222
	;; [unrolled: 1-line block ×4, first 2 shown]
	s_wait_loadcnt_dscnt 0x0
	v_mul_f32_e32 v246, v228, v226
	v_mul_f32_e32 v224, v227, v226
	v_fma_f32 v102, v80, v101, -v229
	v_fma_f32 v110, v82, v109, -v231
	;; [unrolled: 1-line block ×3, first 2 shown]
	v_fmac_f32_e32 v230, v85, v173
	v_fma_f32 v173, v86, v199, -v233
	v_fmac_f32_e32 v174, v87, v199
	v_fma_f32 v199, v89, v201, -v234
	;; [unrolled: 2-line block ×14, first 2 shown]
	v_fmac_f32_e32 v224, v228, v225
	ds_store_2addr_b64 v175, v[102:103], v[110:111] offset0:17 offset1:41
	ds_store_2addr_b64 v175, v[229:230], v[173:174] offset0:65 offset1:89
	;; [unrolled: 1-line block ×8, first 2 shown]
	ds_store_b64 v175, v[223:224] offset:3208
.LBB0_9:
	s_wait_alu 0xfffe
	s_or_b32 exec_lo, exec_lo, s2
	global_wb scope:SCOPE_SE
	s_wait_dscnt 0x0
	s_barrier_signal -1
	s_barrier_wait -1
	global_inv scope:SCOPE_SE
	ds_load_2addr_b64 v[108:111], v175 offset1:24
	ds_load_2addr_b64 v[100:103], v175 offset0:48 offset1:72
	ds_load_2addr_b64 v[92:95], v175 offset0:96 offset1:120
	;; [unrolled: 1-line block ×7, first 2 shown]
	ds_load_b64 v[173:174], v175 offset:3072
	s_and_saveexec_b32 s0, vcc_lo
	s_cbranch_execz .LBB0_11
; %bb.10:
	v_lshl_add_u32 v68, v140, 3, v116
	ds_load_2addr_b64 v[165:168], v68 offset0:185 offset1:209
	v_add_nc_u32_e32 v28, 0x400, v68
	s_wait_dscnt 0x0
	v_dual_mov_b32 v164, v168 :: v_dual_add_nc_u32 v29, 0x800, v68
	v_mov_b32_e32 v163, v167
	ds_load_2addr_b64 v[155:158], v28 offset0:105 offset1:129
	ds_load_2addr_b64 v[191:194], v29 offset0:25 offset1:49
	;; [unrolled: 1-line block ×4, first 2 shown]
	ds_load_b64 v[171:172], v175 offset:136
	ds_load_2addr_b64 v[76:79], v68 offset0:41 offset1:65
	ds_load_2addr_b64 v[72:75], v68 offset0:89 offset1:113
	ds_load_2addr_b64 v[68:71], v68 offset0:137 offset1:161
	s_wait_dscnt 0x7
	v_dual_mov_b32 v167, v155 :: v_dual_mov_b32 v168, v156
	v_dual_mov_b32 v137, v157 :: v_dual_mov_b32 v138, v158
	s_wait_dscnt 0x6
	v_dual_mov_b32 v161, v191 :: v_dual_mov_b32 v162, v192
	v_dual_mov_b32 v159, v193 :: v_dual_mov_b32 v160, v194
	;; [unrolled: 3-line block ×3, first 2 shown]
.LBB0_11:
	s_wait_alu 0xfffe
	s_or_b32 exec_lo, exec_lo, s0
	s_wait_dscnt 0x8
	v_dual_add_f32 v192, v108, v110 :: v_dual_add_f32 v193, v109, v111
	v_add_nc_u32_e32 v183, 0x110, v190
	v_add_nc_u32_e32 v184, 0x88, v190
	s_wait_dscnt 0x0
	v_dual_sub_f32 v195, v111, v174 :: v_dual_add_f32 v196, v174, v111
	v_dual_add_f32 v192, v192, v100 :: v_dual_add_f32 v193, v193, v101
	v_add_f32_e32 v194, v173, v110
	s_delay_alu instid0(VALU_DEP_3) | instskip(SKIP_1) | instid1(VALU_DEP_4)
	v_mul_f32_e32 v218, 0xbf06c442, v195
	v_sub_f32_e32 v223, v101, v107
	v_dual_add_f32 v111, v192, v102 :: v_dual_add_f32 v192, v193, v103
	v_dual_sub_f32 v193, v110, v173 :: v_dual_mul_f32 v110, 0xbeb8f4ab, v195
	v_mul_f32_e32 v197, 0x3f6eb680, v196
	s_delay_alu instid0(VALU_DEP_3) | instskip(SKIP_3) | instid1(VALU_DEP_4)
	v_dual_add_f32 v111, v111, v92 :: v_dual_add_f32 v192, v192, v93
	v_mul_f32_e32 v198, 0xbf2c7751, v195
	v_mul_f32_e32 v199, 0x3f3d2fb0, v196
	v_dual_mul_f32 v219, 0xbf59a7d5, v196 :: v_dual_fmamk_f32 v220, v194, 0xbf59a7d5, v218
	v_dual_add_f32 v111, v111, v94 :: v_dual_mul_f32 v200, 0xbf65296c, v195
	v_dual_add_f32 v192, v192, v95 :: v_dual_mul_f32 v201, 0x3ee437d1, v196
	v_fma_f32 v218, 0xbf59a7d5, v194, -v218
	s_delay_alu instid0(VALU_DEP_3) | instskip(NEXT) | instid1(VALU_DEP_3)
	v_dual_add_f32 v111, v111, v84 :: v_dual_mul_f32 v202, 0xbf7ee86f, v195
	v_dual_add_f32 v192, v192, v85 :: v_dual_mul_f32 v203, 0x3dbcf732, v196
	v_fmamk_f32 v221, v193, 0x3f06c442, v219
	s_delay_alu instid0(VALU_DEP_3) | instskip(NEXT) | instid1(VALU_DEP_3)
	v_dual_add_f32 v111, v111, v86 :: v_dual_mul_f32 v204, 0xbf763a35, v195
	v_dual_add_f32 v192, v192, v87 :: v_dual_fmamk_f32 v205, v194, 0x3f6eb680, v110
	v_fma_f32 v110, 0x3f6eb680, v194, -v110
	s_delay_alu instid0(VALU_DEP_3) | instskip(NEXT) | instid1(VALU_DEP_3)
	v_dual_add_f32 v111, v111, v80 :: v_dual_fmamk_f32 v206, v193, 0x3eb8f4ab, v197
	v_add_f32_e32 v192, v192, v81
	v_fmac_f32_e32 v197, 0xbeb8f4ab, v193
	s_delay_alu instid0(VALU_DEP_4) | instskip(NEXT) | instid1(VALU_DEP_4)
	v_add_f32_e32 v213, v108, v110
	v_dual_add_f32 v111, v111, v82 :: v_dual_fmamk_f32 v208, v193, 0x3f2c7751, v199
	s_delay_alu instid0(VALU_DEP_4) | instskip(SKIP_1) | instid1(VALU_DEP_3)
	v_dual_add_f32 v192, v192, v83 :: v_dual_fmamk_f32 v207, v194, 0x3f3d2fb0, v198
	v_fma_f32 v198, 0x3f3d2fb0, v194, -v198
	v_dual_add_f32 v111, v111, v88 :: v_dual_fmamk_f32 v210, v193, 0x3f65296c, v201
	s_delay_alu instid0(VALU_DEP_3) | instskip(SKIP_2) | instid1(VALU_DEP_3)
	v_add_f32_e32 v192, v192, v89
	v_fmac_f32_e32 v199, 0xbf2c7751, v193
	v_dual_fmac_f32 v201, 0xbf65296c, v193 :: v_dual_add_f32 v206, v109, v206
	v_dual_add_f32 v111, v111, v90 :: v_dual_add_f32 v192, v192, v91
	v_dual_add_f32 v198, v108, v198 :: v_dual_fmamk_f32 v209, v194, 0x3ee437d1, v200
	v_fma_f32 v200, 0x3ee437d1, v194, -v200
	s_delay_alu instid0(VALU_DEP_3) | instskip(NEXT) | instid1(VALU_DEP_4)
	v_add_f32_e32 v111, v111, v96
	v_dual_fmamk_f32 v211, v194, 0x3dbcf732, v202 :: v_dual_add_f32 v192, v192, v97
	v_dual_fmamk_f32 v212, v193, 0x3f7ee86f, v203 :: v_dual_add_f32 v205, v108, v205
	s_delay_alu instid0(VALU_DEP_3) | instskip(SKIP_2) | instid1(VALU_DEP_3)
	v_dual_add_f32 v110, v111, v98 :: v_dual_fmac_f32 v203, 0xbf7ee86f, v193
	v_add_f32_e32 v201, v109, v201
	v_fma_f32 v202, 0x3dbcf732, v194, -v202
	v_dual_add_f32 v199, v109, v199 :: v_dual_add_f32 v110, v110, v104
	v_dual_add_f32 v197, v109, v197 :: v_dual_add_f32 v218, v108, v218
	s_delay_alu instid0(VALU_DEP_3) | instskip(SKIP_4) | instid1(VALU_DEP_3)
	v_add_f32_e32 v202, v108, v202
	global_wb scope:SCOPE_SE
	v_dual_add_f32 v110, v110, v106 :: v_dual_add_f32 v111, v192, v99
	v_dual_add_f32 v192, v108, v207 :: v_dual_add_f32 v207, v109, v208
	v_add_f32_e32 v208, v108, v209
	v_add_f32_e32 v110, v110, v173
	s_delay_alu instid0(VALU_DEP_4) | instskip(SKIP_2) | instid1(VALU_DEP_3)
	v_dual_add_f32 v111, v111, v105 :: v_dual_add_f32 v200, v108, v200
	v_dual_add_f32 v209, v109, v210 :: v_dual_add_f32 v210, v108, v211
	v_mul_f32_e32 v211, 0xbe8c1d8e, v196
	v_add_f32_e32 v111, v111, v107
	s_barrier_signal -1
	s_barrier_wait -1
	global_inv scope:SCOPE_SE
	v_dual_fmamk_f32 v214, v193, 0x3f763a35, v211 :: v_dual_add_f32 v111, v111, v174
	v_dual_fmamk_f32 v173, v194, 0xbe8c1d8e, v204 :: v_dual_add_f32 v174, v109, v212
	v_mul_f32_e32 v212, 0xbf4c4adb, v195
	s_delay_alu instid0(VALU_DEP_3) | instskip(NEXT) | instid1(VALU_DEP_3)
	v_dual_add_f32 v214, v109, v214 :: v_dual_mul_f32 v195, 0xbe3c28d5, v195
	v_add_f32_e32 v173, v108, v173
	s_delay_alu instid0(VALU_DEP_3) | instskip(SKIP_1) | instid1(VALU_DEP_4)
	v_dual_add_f32 v203, v109, v203 :: v_dual_fmamk_f32 v216, v194, 0xbf1a4643, v212
	v_fma_f32 v212, 0xbf1a4643, v194, -v212
	v_fmamk_f32 v222, v194, 0xbf7ba420, v195
	v_mul_f32_e32 v215, 0xbf1a4643, v196
	v_add_f32_e32 v220, v108, v220
	v_mul_f32_e32 v196, 0xbf7ba420, v196
	v_fma_f32 v204, 0xbe8c1d8e, v194, -v204
	s_delay_alu instid0(VALU_DEP_4) | instskip(SKIP_1) | instid1(VALU_DEP_3)
	v_dual_add_f32 v222, v108, v222 :: v_dual_fmamk_f32 v217, v193, 0x3f4c4adb, v215
	v_dual_add_f32 v212, v108, v212 :: v_dual_fmac_f32 v215, 0xbf4c4adb, v193
	v_dual_fmac_f32 v211, 0xbf763a35, v193 :: v_dual_add_f32 v204, v108, v204
	v_dual_fmamk_f32 v224, v193, 0x3e3c28d5, v196 :: v_dual_add_f32 v101, v107, v101
	s_delay_alu instid0(VALU_DEP_3)
	v_dual_add_f32 v215, v109, v215 :: v_dual_fmac_f32 v196, 0xbe3c28d5, v193
	v_fma_f32 v194, 0xbf7ba420, v194, -v195
	v_fmac_f32_e32 v219, 0xbf06c442, v193
	v_dual_add_f32 v211, v109, v211 :: v_dual_add_f32 v216, v108, v216
	v_dual_add_f32 v107, v106, v100 :: v_dual_sub_f32 v100, v100, v106
	v_mul_f32_e32 v106, 0x3f3d2fb0, v101
	s_delay_alu instid0(VALU_DEP_4) | instskip(NEXT) | instid1(VALU_DEP_2)
	v_dual_add_f32 v108, v108, v194 :: v_dual_add_f32 v219, v109, v219
	v_dual_add_f32 v217, v109, v217 :: v_dual_fmamk_f32 v194, v100, 0x3f2c7751, v106
	v_dual_mul_f32 v195, 0xbf2c7751, v223 :: v_dual_fmac_f32 v106, 0xbf2c7751, v100
	v_add_f32_e32 v221, v109, v221
	s_delay_alu instid0(VALU_DEP_3) | instskip(SKIP_1) | instid1(VALU_DEP_4)
	v_dual_add_f32 v193, v109, v224 :: v_dual_add_f32 v194, v194, v206
	v_dual_add_f32 v109, v109, v196 :: v_dual_mul_f32 v196, 0xbf7ee86f, v223
	v_fmamk_f32 v224, v107, 0x3f3d2fb0, v195
	v_fma_f32 v195, 0x3f3d2fb0, v107, -v195
	v_dual_add_f32 v106, v106, v197 :: v_dual_mul_f32 v197, 0xbf4c4adb, v223
	s_delay_alu instid0(VALU_DEP_3) | instskip(NEXT) | instid1(VALU_DEP_3)
	v_dual_fmamk_f32 v206, v107, 0x3dbcf732, v196 :: v_dual_add_f32 v205, v224, v205
	v_add_f32_e32 v195, v195, v213
	v_fma_f32 v196, 0x3dbcf732, v107, -v196
	s_delay_alu instid0(VALU_DEP_4) | instskip(SKIP_2) | instid1(VALU_DEP_4)
	v_fmamk_f32 v213, v107, 0xbf1a4643, v197
	v_mul_f32_e32 v224, 0x3dbcf732, v101
	v_dual_add_f32 v192, v206, v192 :: v_dual_mul_f32 v225, 0xbf1a4643, v101
	v_add_f32_e32 v196, v196, v198
	v_fma_f32 v197, 0xbf1a4643, v107, -v197
	s_delay_alu instid0(VALU_DEP_1) | instskip(NEXT) | instid1(VALU_DEP_1)
	v_dual_fmamk_f32 v206, v100, 0x3f7ee86f, v224 :: v_dual_add_f32 v197, v197, v200
	v_dual_add_f32 v206, v206, v207 :: v_dual_fmamk_f32 v207, v100, 0x3f4c4adb, v225
	v_fmac_f32_e32 v224, 0xbf7ee86f, v100
	v_fmac_f32_e32 v225, 0xbf4c4adb, v100
	s_delay_alu instid0(VALU_DEP_2) | instskip(SKIP_2) | instid1(VALU_DEP_2)
	v_dual_add_f32 v207, v207, v209 :: v_dual_add_f32 v198, v224, v199
	v_dual_add_f32 v199, v213, v208 :: v_dual_mul_f32 v208, 0xbe3c28d5, v223
	v_mul_f32_e32 v213, 0xbf7ba420, v101
	v_dual_add_f32 v200, v225, v201 :: v_dual_fmamk_f32 v209, v107, 0xbf7ba420, v208
	v_fma_f32 v208, 0xbf7ba420, v107, -v208
	s_delay_alu instid0(VALU_DEP_3) | instskip(NEXT) | instid1(VALU_DEP_2)
	v_fmamk_f32 v201, v100, 0x3e3c28d5, v213
	v_add_f32_e32 v202, v208, v202
	s_delay_alu instid0(VALU_DEP_4) | instskip(NEXT) | instid1(VALU_DEP_3)
	v_dual_mul_f32 v224, 0x3f06c442, v223 :: v_dual_add_f32 v209, v209, v210
	v_add_f32_e32 v174, v201, v174
	s_delay_alu instid0(VALU_DEP_2) | instskip(NEXT) | instid1(VALU_DEP_1)
	v_dual_mul_f32 v210, 0xbf59a7d5, v101 :: v_dual_fmamk_f32 v201, v107, 0xbf59a7d5, v224
	v_dual_mul_f32 v208, 0x3f763a35, v223 :: v_dual_add_f32 v173, v201, v173
	s_delay_alu instid0(VALU_DEP_2) | instskip(NEXT) | instid1(VALU_DEP_1)
	v_fmamk_f32 v201, v100, 0xbf06c442, v210
	v_dual_fmac_f32 v210, 0x3f06c442, v100 :: v_dual_add_f32 v201, v201, v214
	s_delay_alu instid0(VALU_DEP_1) | instskip(SKIP_2) | instid1(VALU_DEP_3)
	v_dual_fmac_f32 v213, 0xbe3c28d5, v100 :: v_dual_add_f32 v210, v210, v211
	v_mul_f32_e32 v214, 0x3f65296c, v223
	v_mul_f32_e32 v223, 0x3eb8f4ab, v223
	v_add_f32_e32 v203, v213, v203
	v_fma_f32 v213, 0xbf59a7d5, v107, -v224
	v_fmamk_f32 v224, v107, 0xbe8c1d8e, v208
	v_fma_f32 v208, 0xbe8c1d8e, v107, -v208
	s_delay_alu instid0(VALU_DEP_3) | instskip(NEXT) | instid1(VALU_DEP_3)
	v_dual_mul_f32 v225, 0xbe8c1d8e, v101 :: v_dual_add_f32 v204, v213, v204
	v_dual_add_f32 v211, v224, v216 :: v_dual_mul_f32 v216, 0x3ee437d1, v101
	s_delay_alu instid0(VALU_DEP_3) | instskip(NEXT) | instid1(VALU_DEP_3)
	v_add_f32_e32 v208, v208, v212
	v_fmamk_f32 v213, v100, 0xbf763a35, v225
	s_delay_alu instid0(VALU_DEP_1)
	v_add_f32_e32 v213, v213, v217
	v_fmamk_f32 v217, v107, 0x3ee437d1, v214
	v_fmamk_f32 v212, v100, 0xbf65296c, v216
	v_fmac_f32_e32 v225, 0x3f763a35, v100
	v_fma_f32 v214, 0x3ee437d1, v107, -v214
	v_fmac_f32_e32 v216, 0x3f65296c, v100
	v_dual_add_f32 v217, v217, v220 :: v_dual_fmamk_f32 v220, v107, 0x3f6eb680, v223
	s_delay_alu instid0(VALU_DEP_4) | instskip(NEXT) | instid1(VALU_DEP_3)
	v_dual_add_f32 v212, v212, v221 :: v_dual_add_f32 v215, v225, v215
	v_dual_mul_f32 v101, 0x3f6eb680, v101 :: v_dual_add_f32 v216, v216, v219
	v_add_f32_e32 v214, v214, v218
	v_dual_sub_f32 v218, v103, v105 :: v_dual_add_f32 v221, v104, v102
	v_add_f32_e32 v219, v220, v222
	s_delay_alu instid0(VALU_DEP_4) | instskip(NEXT) | instid1(VALU_DEP_3)
	v_dual_fmamk_f32 v220, v100, 0xbeb8f4ab, v101 :: v_dual_add_f32 v103, v105, v103
	v_mul_f32_e32 v222, 0xbf65296c, v218
	v_fmac_f32_e32 v101, 0x3eb8f4ab, v100
	v_sub_f32_e32 v100, v102, v104
	v_fma_f32 v105, 0x3f6eb680, v107, -v223
	v_dual_mul_f32 v104, 0x3ee437d1, v103 :: v_dual_add_f32 v107, v220, v193
	v_fmamk_f32 v102, v221, 0x3ee437d1, v222
	v_fma_f32 v193, 0x3ee437d1, v221, -v222
	s_delay_alu instid0(VALU_DEP_3) | instskip(SKIP_1) | instid1(VALU_DEP_4)
	v_dual_add_f32 v105, v105, v108 :: v_dual_fmamk_f32 v108, v100, 0x3f65296c, v104
	v_fmac_f32_e32 v104, 0xbf65296c, v100
	v_add_f32_e32 v102, v102, v205
	v_add_f32_e32 v101, v101, v109
	v_mul_f32_e32 v109, 0xbf4c4adb, v218
	v_dual_mul_f32 v205, 0xbf1a4643, v103 :: v_dual_add_f32 v108, v108, v194
	v_dual_add_f32 v193, v193, v195 :: v_dual_add_f32 v104, v104, v106
	s_delay_alu instid0(VALU_DEP_3) | instskip(SKIP_2) | instid1(VALU_DEP_3)
	v_fmamk_f32 v194, v221, 0xbf1a4643, v109
	v_mul_f32_e32 v195, 0x3e3c28d5, v218
	v_mul_f32_e32 v220, 0xbe8c1d8e, v103
	v_add_f32_e32 v192, v194, v192
	v_fma_f32 v109, 0xbf1a4643, v221, -v109
	v_fmamk_f32 v106, v100, 0x3f4c4adb, v205
	v_fmamk_f32 v194, v221, 0xbf7ba420, v195
	s_delay_alu instid0(VALU_DEP_3) | instskip(NEXT) | instid1(VALU_DEP_3)
	v_add_f32_e32 v109, v109, v196
	v_dual_fmac_f32 v205, 0xbf4c4adb, v100 :: v_dual_add_f32 v106, v106, v206
	v_mul_f32_e32 v206, 0xbf7ba420, v103
	s_delay_alu instid0(VALU_DEP_4) | instskip(SKIP_1) | instid1(VALU_DEP_3)
	v_add_f32_e32 v194, v194, v199
	v_fma_f32 v195, 0xbf7ba420, v221, -v195
	v_dual_add_f32 v196, v205, v198 :: v_dual_fmamk_f32 v199, v100, 0xbe3c28d5, v206
	v_fmac_f32_e32 v206, 0x3e3c28d5, v100
	s_delay_alu instid0(VALU_DEP_3) | instskip(NEXT) | instid1(VALU_DEP_3)
	v_dual_mul_f32 v198, 0x3f763a35, v218 :: v_dual_add_f32 v195, v195, v197
	v_add_f32_e32 v199, v199, v207
	s_delay_alu instid0(VALU_DEP_3) | instskip(NEXT) | instid1(VALU_DEP_3)
	v_add_f32_e32 v197, v206, v200
	v_fmamk_f32 v205, v221, 0xbe8c1d8e, v198
	v_fma_f32 v198, 0xbe8c1d8e, v221, -v198
	s_delay_alu instid0(VALU_DEP_2) | instskip(SKIP_3) | instid1(VALU_DEP_4)
	v_dual_add_f32 v200, v205, v209 :: v_dual_fmamk_f32 v205, v100, 0xbf763a35, v220
	v_fmac_f32_e32 v220, 0x3f763a35, v100
	v_mul_f32_e32 v207, 0x3f3d2fb0, v103
	v_mul_f32_e32 v209, 0xbeb8f4ab, v218
	v_add_f32_e32 v174, v205, v174
	v_mul_f32_e32 v206, 0x3f2c7751, v218
	v_add_f32_e32 v198, v198, v202
	v_add_f32_e32 v202, v220, v203
	v_fmamk_f32 v203, v100, 0xbf2c7751, v207
	v_fmac_f32_e32 v207, 0x3f2c7751, v100
	v_fmamk_f32 v205, v221, 0x3f3d2fb0, v206
	s_delay_alu instid0(VALU_DEP_3) | instskip(SKIP_1) | instid1(VALU_DEP_3)
	v_dual_mul_f32 v220, 0x3dbcf732, v103 :: v_dual_add_f32 v201, v203, v201
	v_fmamk_f32 v203, v221, 0x3f6eb680, v209
	v_add_f32_e32 v173, v205, v173
	v_fma_f32 v205, 0x3f3d2fb0, v221, -v206
	v_mul_f32_e32 v206, 0x3f6eb680, v103
	v_fma_f32 v209, 0x3f6eb680, v221, -v209
	s_delay_alu instid0(VALU_DEP_3) | instskip(SKIP_4) | instid1(VALU_DEP_3)
	v_dual_add_f32 v203, v203, v211 :: v_dual_add_f32 v204, v205, v204
	v_add_f32_e32 v205, v207, v210
	v_mul_f32_e32 v207, 0xbf7ee86f, v218
	v_fmamk_f32 v210, v100, 0x3eb8f4ab, v206
	v_add_f32_e32 v208, v209, v208
	v_fmamk_f32 v211, v221, 0x3dbcf732, v207
	v_fmac_f32_e32 v206, 0xbeb8f4ab, v100
	s_delay_alu instid0(VALU_DEP_4) | instskip(SKIP_1) | instid1(VALU_DEP_3)
	v_dual_add_f32 v210, v210, v213 :: v_dual_mul_f32 v213, 0xbf06c442, v218
	v_mul_f32_e32 v103, 0xbf59a7d5, v103
	v_dual_add_f32 v209, v211, v217 :: v_dual_add_f32 v206, v206, v215
	v_fmamk_f32 v211, v100, 0x3f7ee86f, v220
	v_fma_f32 v207, 0x3dbcf732, v221, -v207
	v_fmac_f32_e32 v220, 0xbf7ee86f, v100
	s_delay_alu instid0(VALU_DEP_3) | instskip(SKIP_1) | instid1(VALU_DEP_3)
	v_dual_add_f32 v211, v211, v212 :: v_dual_fmamk_f32 v212, v221, 0xbf59a7d5, v213
	v_fmamk_f32 v215, v100, 0x3f06c442, v103
	v_dual_add_f32 v207, v207, v214 :: v_dual_add_f32 v214, v220, v216
	v_dual_sub_f32 v216, v93, v99 :: v_dual_add_f32 v93, v99, v93
	s_delay_alu instid0(VALU_DEP_4) | instskip(NEXT) | instid1(VALU_DEP_4)
	v_add_f32_e32 v212, v212, v219
	v_add_f32_e32 v107, v215, v107
	;; [unrolled: 1-line block ×3, first 2 shown]
	s_delay_alu instid0(VALU_DEP_4) | instskip(SKIP_3) | instid1(VALU_DEP_3)
	v_mul_f32_e32 v99, 0xbf7ee86f, v216
	v_fma_f32 v213, 0xbf59a7d5, v221, -v213
	v_dual_fmac_f32 v103, 0xbf06c442, v100 :: v_dual_sub_f32 v92, v92, v98
	v_mul_f32_e32 v98, 0x3dbcf732, v93
	v_dual_fmamk_f32 v100, v215, 0x3dbcf732, v99 :: v_dual_add_f32 v105, v213, v105
	s_delay_alu instid0(VALU_DEP_3) | instskip(SKIP_1) | instid1(VALU_DEP_4)
	v_add_f32_e32 v101, v103, v101
	v_mul_f32_e32 v103, 0xbe3c28d5, v216
	v_fmamk_f32 v213, v92, 0x3f7ee86f, v98
	s_delay_alu instid0(VALU_DEP_4) | instskip(SKIP_1) | instid1(VALU_DEP_4)
	v_add_f32_e32 v100, v100, v102
	v_fma_f32 v99, 0x3dbcf732, v215, -v99
	v_fmamk_f32 v102, v215, 0xbf7ba420, v103
	s_delay_alu instid0(VALU_DEP_4) | instskip(NEXT) | instid1(VALU_DEP_3)
	v_dual_add_f32 v108, v213, v108 :: v_dual_mul_f32 v213, 0xbf7ba420, v93
	v_add_f32_e32 v99, v99, v193
	v_fma_f32 v103, 0xbf7ba420, v215, -v103
	s_delay_alu instid0(VALU_DEP_4) | instskip(NEXT) | instid1(VALU_DEP_2)
	v_dual_add_f32 v102, v102, v192 :: v_dual_mul_f32 v193, 0xbe8c1d8e, v93
	v_dual_fmamk_f32 v192, v92, 0x3e3c28d5, v213 :: v_dual_add_f32 v103, v103, v109
	s_delay_alu instid0(VALU_DEP_1) | instskip(NEXT) | instid1(VALU_DEP_3)
	v_add_f32_e32 v106, v192, v106
	v_fmamk_f32 v192, v92, 0xbf763a35, v193
	v_fmac_f32_e32 v213, 0xbe3c28d5, v92
	s_delay_alu instid0(VALU_DEP_2) | instskip(NEXT) | instid1(VALU_DEP_2)
	v_dual_fmac_f32 v193, 0x3f763a35, v92 :: v_dual_add_f32 v192, v192, v199
	v_add_f32_e32 v109, v213, v196
	v_fmac_f32_e32 v98, 0xbf7ee86f, v92
	s_delay_alu instid0(VALU_DEP_3) | instskip(NEXT) | instid1(VALU_DEP_2)
	v_dual_mul_f32 v196, 0x3eb8f4ab, v216 :: v_dual_add_f32 v193, v193, v197
	v_add_f32_e32 v98, v98, v104
	v_mul_f32_e32 v104, 0x3f763a35, v216
	s_delay_alu instid0(VALU_DEP_3) | instskip(SKIP_2) | instid1(VALU_DEP_3)
	v_fmamk_f32 v213, v215, 0x3f6eb680, v196
	v_fma_f32 v196, 0x3f6eb680, v215, -v196
	v_mul_f32_e32 v199, 0x3f6eb680, v93
	v_dual_fmamk_f32 v217, v215, 0xbe8c1d8e, v104 :: v_dual_add_f32 v200, v213, v200
	v_fma_f32 v104, 0xbe8c1d8e, v215, -v104
	s_delay_alu instid0(VALU_DEP_4) | instskip(NEXT) | instid1(VALU_DEP_4)
	v_add_f32_e32 v196, v196, v198
	v_fmamk_f32 v197, v92, 0xbeb8f4ab, v199
	s_delay_alu instid0(VALU_DEP_4) | instskip(NEXT) | instid1(VALU_DEP_4)
	v_dual_fmac_f32 v199, 0x3eb8f4ab, v92 :: v_dual_add_f32 v194, v217, v194
	v_dual_add_f32 v104, v104, v195 :: v_dual_mul_f32 v195, 0xbf65296c, v216
	s_delay_alu instid0(VALU_DEP_3) | instskip(NEXT) | instid1(VALU_DEP_3)
	v_add_f32_e32 v174, v197, v174
	v_dual_add_f32 v198, v199, v202 :: v_dual_mul_f32 v197, 0x3ee437d1, v93
	v_mul_f32_e32 v199, 0xbf06c442, v216
	s_delay_alu instid0(VALU_DEP_4) | instskip(SKIP_1) | instid1(VALU_DEP_4)
	v_fmamk_f32 v213, v215, 0x3ee437d1, v195
	v_fma_f32 v195, 0x3ee437d1, v215, -v195
	v_fmamk_f32 v202, v92, 0x3f65296c, v197
	v_fmac_f32_e32 v197, 0xbf65296c, v92
	s_delay_alu instid0(VALU_DEP_4) | instskip(SKIP_4) | instid1(VALU_DEP_4)
	v_add_f32_e32 v173, v213, v173
	v_mul_f32_e32 v213, 0xbf59a7d5, v93
	v_fmamk_f32 v217, v215, 0xbf59a7d5, v199
	v_add_f32_e32 v195, v195, v204
	v_add_f32_e32 v201, v202, v201
	v_dual_add_f32 v197, v197, v205 :: v_dual_fmamk_f32 v202, v92, 0x3f06c442, v213
	v_mul_f32_e32 v204, 0x3f4c4adb, v216
	v_fma_f32 v199, 0xbf59a7d5, v215, -v199
	v_fmac_f32_e32 v213, 0xbf06c442, v92
	s_delay_alu instid0(VALU_DEP_4) | instskip(NEXT) | instid1(VALU_DEP_4)
	v_dual_mul_f32 v205, 0xbf1a4643, v93 :: v_dual_add_f32 v202, v202, v210
	v_fmamk_f32 v210, v215, 0xbf1a4643, v204
	v_mul_f32_e32 v93, 0x3f3d2fb0, v93
	s_delay_alu instid0(VALU_DEP_4) | instskip(NEXT) | instid1(VALU_DEP_4)
	v_dual_add_f32 v199, v199, v208 :: v_dual_add_f32 v206, v213, v206
	v_fmamk_f32 v213, v92, 0xbf4c4adb, v205
	s_delay_alu instid0(VALU_DEP_4) | instskip(SKIP_2) | instid1(VALU_DEP_3)
	v_dual_mul_f32 v208, 0x3f2c7751, v216 :: v_dual_add_f32 v209, v210, v209
	v_fma_f32 v204, 0xbf1a4643, v215, -v204
	v_fmac_f32_e32 v205, 0x3f4c4adb, v92
	v_dual_add_f32 v211, v213, v211 :: v_dual_fmamk_f32 v210, v215, 0x3f3d2fb0, v208
	v_fma_f32 v208, 0x3f3d2fb0, v215, -v208
	s_delay_alu instid0(VALU_DEP_2) | instskip(SKIP_4) | instid1(VALU_DEP_4)
	v_dual_add_f32 v204, v204, v207 :: v_dual_add_f32 v207, v210, v212
	v_dual_sub_f32 v210, v95, v97 :: v_dual_add_f32 v95, v97, v95
	v_fmamk_f32 v212, v92, 0xbf2c7751, v93
	v_fmac_f32_e32 v93, 0x3f2c7751, v92
	v_dual_sub_f32 v92, v94, v96 :: v_dual_add_f32 v105, v208, v105
	v_mul_f32_e32 v208, 0x3f06c442, v210
	v_dual_add_f32 v97, v96, v94 :: v_dual_mul_f32 v94, 0xbe8c1d8e, v95
	s_delay_alu instid0(VALU_DEP_4) | instskip(SKIP_1) | instid1(VALU_DEP_3)
	v_dual_add_f32 v93, v93, v101 :: v_dual_add_f32 v96, v212, v107
	v_mul_f32_e32 v212, 0xbf59a7d5, v95
	v_fmamk_f32 v101, v92, 0x3f763a35, v94
	v_fmac_f32_e32 v94, 0xbf763a35, v92
	s_delay_alu instid0(VALU_DEP_2) | instskip(SKIP_1) | instid1(VALU_DEP_3)
	v_add_f32_e32 v101, v101, v108
	v_fmamk_f32 v108, v97, 0xbf59a7d5, v208
	v_dual_add_f32 v203, v217, v203 :: v_dual_add_f32 v94, v94, v98
	v_mul_f32_e32 v98, 0x3f2c7751, v210
	s_delay_alu instid0(VALU_DEP_3) | instskip(SKIP_1) | instid1(VALU_DEP_3)
	v_add_f32_e32 v102, v108, v102
	v_fma_f32 v108, 0xbf59a7d5, v97, -v208
	v_fmamk_f32 v208, v97, 0x3f3d2fb0, v98
	v_fma_f32 v98, 0x3f3d2fb0, v97, -v98
	v_mul_f32_e32 v213, 0xbf763a35, v210
	s_delay_alu instid0(VALU_DEP_4) | instskip(NEXT) | instid1(VALU_DEP_4)
	v_add_f32_e32 v103, v108, v103
	v_add_f32_e32 v108, v208, v194
	s_delay_alu instid0(VALU_DEP_3) | instskip(SKIP_2) | instid1(VALU_DEP_3)
	v_dual_add_f32 v98, v98, v104 :: v_dual_fmamk_f32 v107, v97, 0xbe8c1d8e, v213
	v_mul_f32_e32 v194, 0xbf65296c, v210
	v_dual_mul_f32 v208, 0x3ee437d1, v95 :: v_dual_add_f32 v205, v205, v214
	v_add_f32_e32 v100, v107, v100
	v_fma_f32 v107, 0xbe8c1d8e, v97, -v213
	v_mul_f32_e32 v213, 0x3f3d2fb0, v95
	s_delay_alu instid0(VALU_DEP_2) | instskip(SKIP_2) | instid1(VALU_DEP_1)
	v_add_f32_e32 v99, v107, v99
	v_fmamk_f32 v107, v92, 0xbf06c442, v212
	v_fmac_f32_e32 v212, 0x3f06c442, v92
	v_dual_add_f32 v106, v107, v106 :: v_dual_add_f32 v107, v212, v109
	v_fmamk_f32 v109, v92, 0xbf2c7751, v213
	s_delay_alu instid0(VALU_DEP_1) | instskip(SKIP_2) | instid1(VALU_DEP_2)
	v_dual_mul_f32 v212, 0xbe3c28d5, v210 :: v_dual_add_f32 v109, v109, v192
	v_fmamk_f32 v192, v97, 0x3ee437d1, v194
	v_fma_f32 v194, 0x3ee437d1, v97, -v194
	v_add_f32_e32 v192, v192, v200
	v_mul_f32_e32 v200, 0xbf7ba420, v95
	s_delay_alu instid0(VALU_DEP_3) | instskip(SKIP_1) | instid1(VALU_DEP_1)
	v_add_f32_e32 v194, v194, v196
	v_fmac_f32_e32 v213, 0x3f2c7751, v92
	v_dual_add_f32 v104, v213, v193 :: v_dual_fmamk_f32 v193, v92, 0x3f65296c, v208
	v_fmac_f32_e32 v208, 0xbf65296c, v92
	s_delay_alu instid0(VALU_DEP_2) | instskip(NEXT) | instid1(VALU_DEP_2)
	v_dual_mul_f32 v213, 0x3dbcf732, v95 :: v_dual_add_f32 v174, v193, v174
	v_dual_fmamk_f32 v193, v97, 0xbf7ba420, v212 :: v_dual_add_f32 v196, v208, v198
	v_mul_f32_e32 v198, 0x3f7ee86f, v210
	v_fma_f32 v208, 0xbf7ba420, v97, -v212
	s_delay_alu instid0(VALU_DEP_3) | instskip(SKIP_4) | instid1(VALU_DEP_4)
	v_add_f32_e32 v173, v193, v173
	v_fmamk_f32 v193, v92, 0x3e3c28d5, v200
	v_fmac_f32_e32 v200, 0xbe3c28d5, v92
	v_fmamk_f32 v212, v97, 0x3dbcf732, v198
	v_fma_f32 v198, 0x3dbcf732, v97, -v198
	v_add_f32_e32 v193, v193, v201
	s_delay_alu instid0(VALU_DEP_4) | instskip(NEXT) | instid1(VALU_DEP_4)
	v_add_f32_e32 v197, v200, v197
	v_add_f32_e32 v200, v212, v203
	v_fmamk_f32 v201, v92, 0xbf7ee86f, v213
	v_mul_f32_e32 v203, 0xbeb8f4ab, v210
	v_add_f32_e32 v195, v208, v195
	v_mul_f32_e32 v208, 0x3f6eb680, v95
	v_add_f32_e32 v198, v198, v199
	;; [unrolled: 2-line block ×3, first 2 shown]
	v_fmac_f32_e32 v213, 0x3f7ee86f, v92
	v_fmamk_f32 v199, v92, 0x3eb8f4ab, v208
	v_mul_f32_e32 v210, 0xbf4c4adb, v210
	v_fmac_f32_e32 v208, 0xbeb8f4ab, v92
	v_fmamk_f32 v202, v97, 0x3f6eb680, v203
	v_fma_f32 v203, 0x3f6eb680, v97, -v203
	v_add_f32_e32 v199, v199, v211
	s_delay_alu instid0(VALU_DEP_4) | instskip(NEXT) | instid1(VALU_DEP_3)
	v_add_f32_e32 v205, v208, v205
	v_dual_add_f32 v202, v202, v209 :: v_dual_add_f32 v203, v203, v204
	v_dual_sub_f32 v204, v85, v91 :: v_dual_add_f32 v85, v91, v85
	v_fmamk_f32 v209, v97, 0xbf1a4643, v210
	v_fma_f32 v91, 0xbf1a4643, v97, -v210
	v_fmamk_f32 v208, v92, 0x3f4c4adb, v95
	v_fmac_f32_e32 v95, 0xbf4c4adb, v92
	s_delay_alu instid0(VALU_DEP_4) | instskip(NEXT) | instid1(VALU_DEP_4)
	v_dual_mul_f32 v92, 0xbf1a4643, v85 :: v_dual_add_f32 v207, v209, v207
	v_add_f32_e32 v91, v91, v105
	v_mul_f32_e32 v105, 0xbe8c1d8e, v85
	v_dual_add_f32 v209, v90, v84 :: v_dual_sub_f32 v84, v84, v90
	v_add_f32_e32 v93, v95, v93
	v_mul_f32_e32 v97, 0x3f763a35, v204
	v_add_f32_e32 v96, v208, v96
	s_delay_alu instid0(VALU_DEP_4) | instskip(SKIP_1) | instid1(VALU_DEP_1)
	v_dual_add_f32 v206, v213, v206 :: v_dual_fmamk_f32 v95, v84, 0x3f4c4adb, v92
	v_fmac_f32_e32 v92, 0xbf4c4adb, v84
	v_add_f32_e32 v92, v92, v94
	v_fmamk_f32 v94, v84, 0xbf763a35, v105
	v_mul_f32_e32 v211, 0xbf4c4adb, v204
	s_delay_alu instid0(VALU_DEP_2) | instskip(NEXT) | instid1(VALU_DEP_2)
	v_dual_fmac_f32 v105, 0x3f763a35, v84 :: v_dual_add_f32 v94, v94, v106
	v_fmamk_f32 v90, v209, 0xbf1a4643, v211
	s_delay_alu instid0(VALU_DEP_1) | instskip(SKIP_1) | instid1(VALU_DEP_1)
	v_add_f32_e32 v90, v90, v100
	v_fma_f32 v100, 0xbf1a4643, v209, -v211
	v_dual_add_f32 v99, v100, v99 :: v_dual_mul_f32 v100, 0xbeb8f4ab, v204
	v_mul_f32_e32 v106, 0x3f6eb680, v85
	v_add_f32_e32 v95, v95, v101
	v_fmamk_f32 v101, v209, 0xbe8c1d8e, v97
	v_fma_f32 v97, 0xbe8c1d8e, v209, -v97
	s_delay_alu instid0(VALU_DEP_2) | instskip(SKIP_1) | instid1(VALU_DEP_3)
	v_dual_mul_f32 v208, 0xbf59a7d5, v85 :: v_dual_add_f32 v101, v101, v102
	v_fmamk_f32 v102, v209, 0x3f6eb680, v100
	v_add_f32_e32 v97, v97, v103
	v_add_f32_e32 v103, v105, v107
	v_mul_f32_e32 v105, 0xbf06c442, v204
	s_delay_alu instid0(VALU_DEP_4) | instskip(SKIP_2) | instid1(VALU_DEP_3)
	v_dual_fmamk_f32 v107, v84, 0x3eb8f4ab, v106 :: v_dual_add_f32 v102, v102, v108
	v_fma_f32 v100, 0x3f6eb680, v209, -v100
	v_fmac_f32_e32 v106, 0xbeb8f4ab, v84
	v_dual_fmamk_f32 v108, v209, 0xbf59a7d5, v105 :: v_dual_add_f32 v107, v107, v109
	s_delay_alu instid0(VALU_DEP_3) | instskip(NEXT) | instid1(VALU_DEP_3)
	v_add_f32_e32 v98, v100, v98
	v_add_f32_e32 v100, v106, v104
	s_delay_alu instid0(VALU_DEP_3) | instskip(SKIP_2) | instid1(VALU_DEP_2)
	v_add_f32_e32 v104, v108, v192
	v_fmamk_f32 v106, v84, 0x3f06c442, v208
	v_mul_f32_e32 v108, 0x3f7ee86f, v204
	v_dual_mul_f32 v109, 0x3dbcf732, v85 :: v_dual_add_f32 v106, v106, v174
	s_delay_alu instid0(VALU_DEP_2) | instskip(SKIP_1) | instid1(VALU_DEP_1)
	v_fmamk_f32 v174, v209, 0x3dbcf732, v108
	v_fma_f32 v108, 0x3dbcf732, v209, -v108
	v_dual_add_f32 v173, v174, v173 :: v_dual_add_f32 v108, v108, v195
	v_fma_f32 v105, 0xbf59a7d5, v209, -v105
	v_fmac_f32_e32 v208, 0xbf06c442, v84
	v_mul_f32_e32 v195, 0xbe3c28d5, v204
	s_delay_alu instid0(VALU_DEP_2) | instskip(SKIP_4) | instid1(VALU_DEP_4)
	v_dual_add_f32 v105, v105, v194 :: v_dual_add_f32 v192, v208, v196
	v_fmamk_f32 v194, v84, 0xbf7ee86f, v109
	v_fmac_f32_e32 v109, 0x3f7ee86f, v84
	v_mul_f32_e32 v196, 0xbf2c7751, v204
	v_mul_f32_e32 v208, 0xbf7ba420, v85
	v_add_f32_e32 v174, v194, v193
	s_delay_alu instid0(VALU_DEP_4) | instskip(NEXT) | instid1(VALU_DEP_4)
	v_add_f32_e32 v109, v109, v197
	v_dual_fmamk_f32 v193, v209, 0x3f3d2fb0, v196 :: v_dual_mul_f32 v194, 0x3f3d2fb0, v85
	v_fma_f32 v196, 0x3f3d2fb0, v209, -v196
	s_delay_alu instid0(VALU_DEP_2) | instskip(NEXT) | instid1(VALU_DEP_3)
	v_add_f32_e32 v193, v193, v200
	v_fmamk_f32 v197, v84, 0x3f2c7751, v194
	v_fmamk_f32 v200, v209, 0xbf7ba420, v195
	v_fmac_f32_e32 v194, 0xbf2c7751, v84
	s_delay_alu instid0(VALU_DEP_3) | instskip(NEXT) | instid1(VALU_DEP_3)
	v_dual_add_f32 v196, v196, v198 :: v_dual_add_f32 v197, v197, v201
	v_add_f32_e32 v198, v200, v202
	v_fmamk_f32 v200, v84, 0x3e3c28d5, v208
	v_mul_f32_e32 v201, 0x3f65296c, v204
	v_mul_f32_e32 v85, 0x3ee437d1, v85
	v_dual_sub_f32 v204, v87, v89 :: v_dual_add_f32 v87, v89, v87
	s_delay_alu instid0(VALU_DEP_4) | instskip(NEXT) | instid1(VALU_DEP_4)
	v_dual_fmac_f32 v208, 0xbe3c28d5, v84 :: v_dual_add_f32 v199, v200, v199
	v_fmamk_f32 v200, v209, 0x3ee437d1, v201
	v_fma_f32 v195, 0xbf7ba420, v209, -v195
	s_delay_alu instid0(VALU_DEP_4) | instskip(NEXT) | instid1(VALU_DEP_3)
	v_dual_mul_f32 v89, 0xbf06c442, v204 :: v_dual_add_f32 v194, v194, v206
	v_add_f32_e32 v200, v200, v207
	v_fma_f32 v201, 0x3ee437d1, v209, -v201
	s_delay_alu instid0(VALU_DEP_4) | instskip(SKIP_1) | instid1(VALU_DEP_3)
	v_dual_fmamk_f32 v202, v84, 0xbf65296c, v85 :: v_dual_add_f32 v195, v195, v203
	v_fmac_f32_e32 v85, 0x3f65296c, v84
	v_dual_sub_f32 v84, v86, v88 :: v_dual_add_f32 v91, v201, v91
	s_delay_alu instid0(VALU_DEP_3) | instskip(SKIP_1) | instid1(VALU_DEP_1)
	v_dual_add_f32 v203, v208, v205 :: v_dual_add_f32 v96, v202, v96
	v_add_f32_e32 v202, v88, v86
	v_fmamk_f32 v88, v202, 0xbf59a7d5, v89
	v_fma_f32 v89, 0xbf59a7d5, v202, -v89
	s_delay_alu instid0(VALU_DEP_2) | instskip(SKIP_1) | instid1(VALU_DEP_1)
	v_dual_add_f32 v88, v88, v90 :: v_dual_add_f32 v85, v85, v93
	v_mul_f32_e32 v93, 0x3f65296c, v204
	v_dual_add_f32 v89, v89, v99 :: v_dual_fmamk_f32 v90, v202, 0x3ee437d1, v93
	s_delay_alu instid0(VALU_DEP_1) | instskip(SKIP_1) | instid1(VALU_DEP_1)
	v_add_f32_e32 v90, v90, v101
	v_fma_f32 v93, 0x3ee437d1, v202, -v93
	v_dual_mul_f32 v86, 0xbf59a7d5, v87 :: v_dual_add_f32 v93, v93, v97
	s_delay_alu instid0(VALU_DEP_1) | instskip(SKIP_1) | instid1(VALU_DEP_1)
	v_fmamk_f32 v201, v84, 0x3f06c442, v86
	v_fmac_f32_e32 v86, 0xbf06c442, v84
	v_dual_add_f32 v86, v86, v92 :: v_dual_add_f32 v95, v201, v95
	v_mul_f32_e32 v201, 0x3ee437d1, v87
	s_delay_alu instid0(VALU_DEP_1) | instskip(SKIP_1) | instid1(VALU_DEP_1)
	v_fmamk_f32 v99, v84, 0xbf65296c, v201
	v_fmac_f32_e32 v201, 0x3f65296c, v84
	v_dual_mul_f32 v92, 0xbf7ee86f, v204 :: v_dual_add_f32 v97, v201, v103
	s_delay_alu instid0(VALU_DEP_1) | instskip(SKIP_2) | instid1(VALU_DEP_3)
	v_fmamk_f32 v205, v202, 0x3dbcf732, v92
	v_mul_f32_e32 v103, 0x3f4c4adb, v204
	v_fma_f32 v92, 0x3dbcf732, v202, -v92
	v_dual_mul_f32 v101, 0x3dbcf732, v87 :: v_dual_add_f32 v102, v205, v102
	v_add_f32_e32 v94, v99, v94
	s_delay_alu instid0(VALU_DEP_3) | instskip(NEXT) | instid1(VALU_DEP_3)
	v_dual_add_f32 v92, v92, v98 :: v_dual_fmamk_f32 v201, v202, 0xbf1a4643, v103
	v_fmamk_f32 v99, v84, 0x3f7ee86f, v101
	v_fmac_f32_e32 v101, 0xbf7ee86f, v84
	v_fma_f32 v103, 0xbf1a4643, v202, -v103
	s_delay_alu instid0(VALU_DEP_3) | instskip(NEXT) | instid1(VALU_DEP_3)
	v_dual_add_f32 v104, v201, v104 :: v_dual_add_f32 v99, v99, v107
	v_add_f32_e32 v98, v101, v100
	s_delay_alu instid0(VALU_DEP_3) | instskip(NEXT) | instid1(VALU_DEP_1)
	v_dual_mul_f32 v100, 0xbeb8f4ab, v204 :: v_dual_add_f32 v103, v103, v105
	v_fmamk_f32 v201, v202, 0x3f6eb680, v100
	v_fma_f32 v100, 0x3f6eb680, v202, -v100
	s_delay_alu instid0(VALU_DEP_1) | instskip(NEXT) | instid1(VALU_DEP_1)
	v_dual_mul_f32 v107, 0xbf1a4643, v87 :: v_dual_add_f32 v100, v100, v108
	v_fmamk_f32 v101, v84, 0xbf4c4adb, v107
	v_fmac_f32_e32 v107, 0x3f4c4adb, v84
	s_delay_alu instid0(VALU_DEP_1) | instskip(SKIP_3) | instid1(VALU_DEP_2)
	v_add_f32_e32 v105, v107, v192
	v_add_f32_e32 v107, v201, v173
	v_mul_f32_e32 v201, 0xbf7ba420, v87
	v_mul_f32_e32 v173, 0xbe3c28d5, v204
	v_fmamk_f32 v108, v84, 0x3e3c28d5, v201
	v_fmac_f32_e32 v201, 0xbe3c28d5, v84
	s_delay_alu instid0(VALU_DEP_3) | instskip(SKIP_1) | instid1(VALU_DEP_4)
	v_fmamk_f32 v205, v202, 0xbf7ba420, v173
	v_fma_f32 v173, 0xbf7ba420, v202, -v173
	v_add_f32_e32 v108, v108, v197
	s_delay_alu instid0(VALU_DEP_4) | instskip(SKIP_1) | instid1(VALU_DEP_4)
	v_add_f32_e32 v194, v201, v194
	v_dual_add_f32 v101, v101, v106 :: v_dual_mul_f32 v106, 0x3f6eb680, v87
	v_add_f32_e32 v173, v173, v196
	v_mul_f32_e32 v196, 0xbf763a35, v204
	s_delay_alu instid0(VALU_DEP_3) | instskip(SKIP_1) | instid1(VALU_DEP_2)
	v_fmamk_f32 v192, v84, 0x3eb8f4ab, v106
	v_fmac_f32_e32 v106, 0xbeb8f4ab, v84
	v_add_f32_e32 v174, v192, v174
	v_mul_f32_e32 v192, 0x3f2c7751, v204
	s_delay_alu instid0(VALU_DEP_3)
	v_add_f32_e32 v106, v106, v109
	v_add_f32_e32 v109, v205, v193
	v_mul_f32_e32 v193, 0x3f3d2fb0, v87
	v_mul_f32_e32 v87, 0xbe8c1d8e, v87
	v_fmamk_f32 v197, v202, 0x3f3d2fb0, v192
	v_fma_f32 v192, 0x3f3d2fb0, v202, -v192
	s_delay_alu instid0(VALU_DEP_2) | instskip(NEXT) | instid1(VALU_DEP_2)
	v_dual_add_f32 v197, v197, v198 :: v_dual_fmamk_f32 v198, v202, 0xbe8c1d8e, v196
	v_add_f32_e32 v192, v192, v195
	v_fma_f32 v196, 0xbe8c1d8e, v202, -v196
	v_add_f32_e32 v202, v82, v80
	s_delay_alu instid0(VALU_DEP_4) | instskip(SKIP_1) | instid1(VALU_DEP_4)
	v_dual_add_f32 v195, v198, v200 :: v_dual_sub_f32 v198, v81, v83
	v_fmamk_f32 v200, v84, 0x3f763a35, v87
	v_dual_fmac_f32 v87, 0xbf763a35, v84 :: v_dual_add_f32 v196, v196, v91
	s_delay_alu instid0(VALU_DEP_2) | instskip(NEXT) | instid1(VALU_DEP_2)
	v_add_f32_e32 v200, v200, v96
	v_dual_add_f32 v204, v87, v85 :: v_dual_mul_f32 v85, 0x3eb8f4ab, v198
	s_delay_alu instid0(VALU_DEP_1) | instskip(SKIP_2) | instid1(VALU_DEP_2)
	v_fmamk_f32 v87, v202, 0x3f6eb680, v85
	v_fmamk_f32 v201, v84, 0xbf2c7751, v193
	v_fmac_f32_e32 v193, 0x3f2c7751, v84
	v_add_f32_e32 v199, v201, v199
	v_add_f32_e32 v201, v83, v81
	v_mul_f32_e32 v81, 0xbe3c28d5, v198
	s_delay_alu instid0(VALU_DEP_2) | instskip(SKIP_1) | instid1(VALU_DEP_3)
	v_mul_f32_e32 v83, 0xbf7ba420, v201
	v_add_f32_e32 v193, v193, v203
	v_dual_sub_f32 v203, v80, v82 :: v_dual_fmamk_f32 v80, v202, 0xbf7ba420, v81
	v_fma_f32 v84, 0xbf7ba420, v202, -v81
	s_delay_alu instid0(VALU_DEP_2) | instskip(NEXT) | instid1(VALU_DEP_3)
	v_fmamk_f32 v82, v203, 0x3e3c28d5, v83
	v_add_f32_e32 v80, v80, v88
	s_delay_alu instid0(VALU_DEP_2) | instskip(NEXT) | instid1(VALU_DEP_4)
	v_dual_mul_f32 v88, 0x3f6eb680, v201 :: v_dual_add_f32 v81, v82, v95
	v_dual_add_f32 v82, v84, v89 :: v_dual_mul_f32 v89, 0xbf06c442, v198
	v_add_f32_e32 v84, v87, v90
	v_fma_f32 v87, 0x3f6eb680, v202, -v85
	s_delay_alu instid0(VALU_DEP_3) | instskip(SKIP_1) | instid1(VALU_DEP_1)
	v_fmamk_f32 v90, v202, 0xbf59a7d5, v89
	v_fmac_f32_e32 v83, 0xbe3c28d5, v203
	v_add_f32_e32 v83, v83, v86
	v_fmamk_f32 v86, v203, 0xbeb8f4ab, v88
	v_fmac_f32_e32 v88, 0x3eb8f4ab, v203
	v_mul_f32_e32 v91, 0xbf59a7d5, v201
	v_mul_f32_e32 v95, 0x3f3d2fb0, v201
	s_delay_alu instid0(VALU_DEP_4) | instskip(NEXT) | instid1(VALU_DEP_4)
	v_dual_add_f32 v85, v86, v94 :: v_dual_add_f32 v86, v87, v93
	v_dual_add_f32 v87, v88, v97 :: v_dual_add_f32 v88, v90, v102
	s_delay_alu instid0(VALU_DEP_4)
	v_fmamk_f32 v90, v203, 0x3f06c442, v91
	v_mul_f32_e32 v93, 0x3f2c7751, v198
	v_fma_f32 v94, 0xbf59a7d5, v202, -v89
	v_fmac_f32_e32 v91, 0xbf06c442, v203
	v_mul_f32_e32 v97, 0xbf4c4adb, v198
	v_add_f32_e32 v89, v90, v99
	v_fmamk_f32 v96, v202, 0x3f3d2fb0, v93
	v_add_f32_e32 v90, v94, v92
	v_fmamk_f32 v94, v203, 0xbf2c7751, v95
	v_dual_add_f32 v91, v91, v98 :: v_dual_fmamk_f32 v98, v202, 0xbf1a4643, v97
	s_delay_alu instid0(VALU_DEP_4)
	v_add_f32_e32 v92, v96, v104
	v_fma_f32 v96, 0x3f3d2fb0, v202, -v93
	v_mul_f32_e32 v99, 0xbf1a4643, v201
	v_mul_f32_e32 v104, 0x3ee437d1, v201
	v_add_f32_e32 v93, v94, v101
	v_mul_f32_e32 v101, 0x3f65296c, v198
	v_fmac_f32_e32 v95, 0x3f2c7751, v203
	v_add_f32_e32 v94, v96, v103
	v_add_f32_e32 v96, v98, v107
	v_fmamk_f32 v98, v203, 0x3f4c4adb, v99
	v_fma_f32 v102, 0xbf1a4643, v202, -v97
	v_fmamk_f32 v103, v202, 0x3ee437d1, v101
	v_fmac_f32_e32 v99, 0xbf4c4adb, v203
	v_mul_f32_e32 v107, 0xbe8c1d8e, v201
	v_add_f32_e32 v97, v98, v174
	v_dual_add_f32 v95, v95, v105 :: v_dual_add_f32 v98, v102, v100
	v_add_f32_e32 v100, v103, v109
	v_fmamk_f32 v102, v203, 0xbf65296c, v104
	v_fmac_f32_e32 v104, 0x3f65296c, v203
	v_mul_f32_e32 v105, 0xbf763a35, v198
	v_fma_f32 v103, 0x3ee437d1, v202, -v101
	v_add_f32_e32 v99, v99, v106
	v_dual_add_f32 v101, v102, v108 :: v_dual_fmamk_f32 v108, v203, 0x3f763a35, v107
	s_delay_alu instid0(VALU_DEP_4) | instskip(NEXT) | instid1(VALU_DEP_4)
	v_fmamk_f32 v106, v202, 0xbe8c1d8e, v105
	v_dual_add_f32 v102, v103, v173 :: v_dual_add_f32 v103, v104, v194
	v_mul_f32_e32 v174, 0x3dbcf732, v201
	v_fma_f32 v109, 0xbe8c1d8e, v202, -v105
	s_delay_alu instid0(VALU_DEP_4) | instskip(NEXT) | instid1(VALU_DEP_2)
	v_dual_mul_f32 v173, 0x3f7ee86f, v198 :: v_dual_add_f32 v104, v106, v197
	v_dual_fmac_f32 v107, 0xbf763a35, v203 :: v_dual_add_f32 v106, v109, v192
	s_delay_alu instid0(VALU_DEP_4) | instskip(SKIP_1) | instid1(VALU_DEP_4)
	v_fmamk_f32 v109, v203, 0xbf7ee86f, v174
	v_fmac_f32_e32 v174, 0x3f7ee86f, v203
	v_dual_add_f32 v105, v108, v199 :: v_dual_fmamk_f32 v108, v202, 0x3dbcf732, v173
	v_fma_f32 v173, 0x3dbcf732, v202, -v173
	s_delay_alu instid0(VALU_DEP_4) | instskip(NEXT) | instid1(VALU_DEP_4)
	v_add_f32_e32 v109, v109, v200
	v_dual_add_f32 v174, v174, v204 :: v_dual_add_f32 v107, v107, v193
	s_delay_alu instid0(VALU_DEP_3)
	v_dual_add_f32 v108, v108, v195 :: v_dual_add_f32 v173, v173, v196
	ds_store_2addr_b64 v189, v[110:111], v[80:81] offset1:1
	ds_store_2addr_b64 v189, v[84:85], v[88:89] offset0:2 offset1:3
	ds_store_2addr_b64 v189, v[92:93], v[96:97] offset0:4 offset1:5
	;; [unrolled: 1-line block ×7, first 2 shown]
	ds_store_b64 v189, v[82:83] offset:128
	s_and_saveexec_b32 s0, vcc_lo
	s_cbranch_execz .LBB0_13
; %bb.12:
	v_dual_add_f32 v80, v77, v172 :: v_dual_add_f32 v81, v76, v171
	v_dual_add_f32 v82, v31, v77 :: v_dual_sub_f32 v97, v76, v30
	v_dual_add_f32 v96, v30, v76 :: v_dual_sub_f32 v85, v79, v29
	s_delay_alu instid0(VALU_DEP_3) | instskip(SKIP_2) | instid1(VALU_DEP_3)
	v_dual_add_f32 v80, v79, v80 :: v_dual_add_f32 v81, v78, v81
	v_dual_sub_f32 v84, v77, v31 :: v_dual_add_f32 v87, v28, v78
	v_dual_sub_f32 v90, v72, v155 :: v_dual_sub_f32 v173, v73, v156
	v_dual_add_f32 v76, v73, v80 :: v_dual_add_f32 v77, v72, v81
	v_dual_add_f32 v80, v156, v73 :: v_dual_add_f32 v81, v158, v75
	v_dual_sub_f32 v94, v68, v159 :: v_dual_sub_f32 v235, v69, v160
	s_delay_alu instid0(VALU_DEP_3) | instskip(SKIP_2) | instid1(VALU_DEP_3)
	v_dual_add_f32 v76, v75, v76 :: v_dual_add_f32 v77, v74, v77
	v_dual_add_f32 v92, v155, v72 :: v_dual_add_f32 v109, v160, v69
	;; [unrolled: 1-line block ×4, first 2 shown]
	v_dual_sub_f32 v234, v75, v158 :: v_dual_sub_f32 v91, v70, v161
	v_dual_add_f32 v83, v29, v79 :: v_dual_sub_f32 v86, v78, v28
	s_delay_alu instid0(VALU_DEP_3) | instskip(SKIP_3) | instid1(VALU_DEP_4)
	v_dual_add_f32 v72, v71, v72 :: v_dual_add_f32 v73, v70, v73
	v_add_f32_e32 v93, v161, v70
	v_sub_f32_e32 v236, v71, v162
	v_mul_f32_e32 v240, 0xbf59a7d5, v80
	v_dual_add_f32 v68, v166, v72 :: v_dual_add_f32 v69, v165, v73
	v_sub_f32_e32 v237, v166, v138
	v_dual_sub_f32 v88, v74, v157 :: v_dual_add_f32 v89, v157, v74
	s_delay_alu instid0(VALU_DEP_3)
	v_dual_add_f32 v68, v164, v68 :: v_dual_add_f32 v99, v137, v165
	v_mul_f32_e32 v245, 0x3eb8f4ab, v85
	s_clause 0x2
	scratch_store_b32 off, v182, off offset:44
	scratch_store_b32 off, v183, off offset:48
	;; [unrolled: 1-line block ×3, first 2 shown]
	v_dual_add_f32 v68, v168, v68 :: v_dual_add_f32 v69, v163, v69
	v_dual_mul_f32 v238, 0xbf7ba420, v82 :: v_dual_add_f32 v101, v167, v163
	scratch_store_b32 off, v116, off offset:72 ; 4-byte Folded Spill
	v_dual_add_f32 v68, v138, v68 :: v_dual_add_f32 v69, v167, v69
	v_dual_mul_f32 v116, 0x3f65296c, v236 :: v_dual_mul_f32 v183, 0x3f65296c, v85
	s_delay_alu instid0(VALU_DEP_2) | instskip(NEXT) | instid1(VALU_DEP_3)
	v_dual_mul_f32 v243, 0x3ee437d1, v110 :: v_dual_add_f32 v68, v162, v68
	v_dual_add_f32 v69, v137, v69 :: v_dual_mul_f32 v244, 0xbe3c28d5, v84
	v_dual_add_f32 v189, v138, v166 :: v_dual_sub_f32 v98, v165, v137
	s_delay_alu instid0(VALU_DEP_2) | instskip(SKIP_2) | instid1(VALU_DEP_3)
	v_dual_add_f32 v68, v160, v68 :: v_dual_add_f32 v69, v161, v69
	v_mul_f32_e32 v246, 0xbf06c442, v173
	v_mul_f32_e32 v106, 0xbf763a35, v237
	v_dual_mul_f32 v247, 0xbe8c1d8e, v189 :: v_dual_add_f32 v68, v158, v68
	s_delay_alu instid0(VALU_DEP_4) | instskip(SKIP_1) | instid1(VALU_DEP_3)
	v_dual_add_f32 v69, v159, v69 :: v_dual_add_f32 v158, v168, v164
	v_mul_f32_e32 v248, 0x3f2c7751, v234
	v_dual_mul_f32 v249, 0xbf4c4adb, v235 :: v_dual_add_f32 v68, v156, v68
	s_delay_alu instid0(VALU_DEP_3) | instskip(NEXT) | instid1(VALU_DEP_4)
	v_dual_add_f32 v69, v157, v69 :: v_dual_sub_f32 v100, v163, v167
	v_dual_sub_f32 v159, v164, v168 :: v_dual_mul_f32 v252, 0x3dbcf732, v158
	v_mul_f32_e32 v255, 0x3ee437d1, v83
	s_delay_alu instid0(VALU_DEP_3) | instskip(SKIP_1) | instid1(VALU_DEP_4)
	v_add_f32_e32 v69, v155, v69
	v_dual_add_f32 v29, v29, v68 :: v_dual_fmamk_f32 v68, v90, 0x3f06c442, v240
	v_mul_f32_e32 v253, 0x3f7ee86f, v159
	scratch_store_b32 off, v179, off offset:40 ; 4-byte Folded Spill
	v_add_f32_e32 v28, v28, v69
	v_add_f32_e32 v29, v31, v29
	v_fmamk_f32 v69, v86, 0xbf65296c, v255
	v_mul_f32_e32 v179, 0xbf06c442, v84
	v_mul_f32_e32 v254, 0xbf59a7d5, v82
	v_add_f32_e32 v28, v30, v28
	v_fmamk_f32 v30, v97, 0x3e3c28d5, v238
	v_mul_f32_e32 v239, 0x3f6eb680, v83
	v_mul_f32_e32 v241, 0x3f3d2fb0, v81
	v_dual_fmamk_f32 v70, v87, 0x3ee437d1, v183 :: v_dual_mov_b32 v203, v146
	s_delay_alu instid0(VALU_DEP_3)
	v_dual_add_f32 v30, v172, v30 :: v_dual_fmamk_f32 v31, v86, 0xbeb8f4ab, v239
	v_mov_b32_e32 v107, v176
	scratch_store_b64 off, v[28:29], off offset:56 ; 8-byte Folded Spill
	v_mul_f32_e32 v182, 0x3dbcf732, v80
	v_dual_mul_f32 v191, 0xbf763a35, v159 :: v_dual_add_f32 v30, v31, v30
	v_fmamk_f32 v31, v88, 0xbf2c7751, v241
	v_dual_mul_f32 v176, 0xbf1a4643, v81 :: v_dual_mov_b32 v137, v143
	v_dual_mul_f32 v190, 0xbe8c1d8e, v158 :: v_dual_mul_f32 v115, 0xbe8c1d8e, v83
	s_delay_alu instid0(VALU_DEP_4) | instskip(SKIP_2) | instid1(VALU_DEP_4)
	v_add_f32_e32 v30, v68, v30
	v_fmamk_f32 v68, v87, 0x3f6eb680, v245
	v_mul_f32_e32 v242, 0xbf1a4643, v109
	v_dual_mov_b32 v138, v144 :: v_dual_fmamk_f32 v71, v86, 0xbf763a35, v115
	s_delay_alu instid0(VALU_DEP_4) | instskip(SKIP_1) | instid1(VALU_DEP_4)
	v_add_f32_e32 v30, v31, v30
	v_mul_f32_e32 v184, 0x3f3d2fb0, v189
	v_fmamk_f32 v31, v94, 0x3f4c4adb, v242
	v_mul_f32_e32 v187, 0xbeb8f4ab, v235
	v_mul_f32_e32 v188, 0xbe3c28d5, v236
	;; [unrolled: 1-line block ×4, first 2 shown]
	v_add_f32_e32 v30, v31, v30
	v_fmamk_f32 v31, v91, 0xbf65296c, v243
	v_dual_mul_f32 v118, 0xbf59a7d5, v81 :: v_dual_mov_b32 v103, v129
	v_dual_mov_b32 v251, v178 :: v_dual_mov_b32 v250, v177
	s_delay_alu instid0(VALU_DEP_3) | instskip(SKIP_3) | instid1(VALU_DEP_4)
	v_dual_add_f32 v30, v31, v30 :: v_dual_fmamk_f32 v31, v96, 0xbf7ba420, v244
	v_mul_f32_e32 v178, 0xbf7ba420, v110
	v_mul_f32_e32 v160, 0xbf2c7751, v236
	v_dual_mul_f32 v108, 0xbe3c28d5, v237 :: v_dual_mul_f32 v231, 0xbe3c28d5, v235
	v_dual_add_f32 v31, v171, v31 :: v_dual_mov_b32 v104, v130
	v_mul_f32_e32 v130, 0x3f65296c, v159
	v_dual_mul_f32 v220, 0xbf1a4643, v158 :: v_dual_mul_f32 v219, 0xbf1a4643, v189
	s_delay_alu instid0(VALU_DEP_3) | instskip(SKIP_4) | instid1(VALU_DEP_4)
	v_add_f32_e32 v31, v68, v31
	v_fmamk_f32 v68, v92, 0xbf59a7d5, v246
	v_mul_f32_e32 v223, 0xbf7ee86f, v84
	v_mul_f32_e32 v226, 0xbe3c28d5, v85
	v_dual_mul_f32 v200, 0xbf59a7d5, v158 :: v_dual_mul_f32 v165, 0xbf59a7d5, v109
	v_dual_add_f32 v31, v68, v31 :: v_dual_fmamk_f32 v68, v98, 0x3f763a35, v247
	v_mul_f32_e32 v224, 0xbf06c442, v236
	v_mul_f32_e32 v213, 0xbf59a7d5, v110
	v_fmamk_f32 v76, v87, 0xbf7ba420, v226
	v_mul_f32_e32 v232, 0xbf65296c, v234
	v_add_f32_e32 v30, v68, v30
	v_fmamk_f32 v68, v89, 0x3f3d2fb0, v248
	v_mul_f32_e32 v205, 0xbf4c4adb, v85
	v_mul_f32_e32 v216, 0x3dbcf732, v82
	v_mul_f32_e32 v218, 0xbe8c1d8e, v80
	v_mul_f32_e32 v198, 0xbf1a4643, v83
	v_dual_add_f32 v31, v68, v31 :: v_dual_fmamk_f32 v68, v95, 0xbf1a4643, v249
	v_fmamk_f32 v78, v87, 0xbf1a4643, v205
	v_dual_mul_f32 v230, 0x3f763a35, v173 :: v_dual_mul_f32 v207, 0x3f763a35, v234
	v_dual_mul_f32 v168, 0xbf7ee86f, v85 :: v_dual_mul_f32 v163, 0xbf7ee86f, v234
	s_delay_alu instid0(VALU_DEP_4) | instskip(SKIP_1) | instid1(VALU_DEP_3)
	v_dual_add_f32 v31, v68, v31 :: v_dual_fmamk_f32 v68, v93, 0x3ee437d1, v116
	v_mul_f32_e32 v228, 0x3f4c4adb, v237
	v_fmamk_f32 v102, v87, 0x3dbcf732, v168
	v_mul_f32_e32 v212, 0x3f2c7751, v159
	s_delay_alu instid0(VALU_DEP_4) | instskip(SKIP_4) | instid1(VALU_DEP_4)
	v_dual_mul_f32 v196, 0x3ee437d1, v82 :: v_dual_add_f32 v31, v68, v31
	v_fmamk_f32 v68, v99, 0xbe8c1d8e, v106
	v_mul_f32_e32 v199, 0xbf2c7751, v84
	v_dual_mul_f32 v194, 0xbe8c1d8e, v81 :: v_dual_mul_f32 v167, 0xbe8c1d8e, v110
	v_mul_f32_e32 v192, 0x3f6eb680, v110
	v_add_f32_e32 v68, v68, v31
	v_fmamk_f32 v31, v100, 0xbf7ee86f, v252
	v_dual_mul_f32 v166, 0x3f3d2fb0, v82 :: v_dual_mul_f32 v157, 0x3f3d2fb0, v83
	v_mul_f32_e32 v206, 0x3f2c7751, v235
	s_delay_alu instid0(VALU_DEP_3) | instskip(SKIP_4) | instid1(VALU_DEP_4)
	v_dual_mul_f32 v204, 0xbeb8f4ab, v236 :: v_dual_add_f32 v29, v31, v30
	v_dual_fmamk_f32 v30, v101, 0x3dbcf732, v253 :: v_dual_mul_f32 v161, 0x3dbcf732, v83
	v_mul_f32_e32 v208, 0xbf06c442, v159
	v_mul_f32_e32 v156, 0x3ee437d1, v80
	v_mov_b32_e32 v202, v145
	v_add_f32_e32 v28, v30, v68
	v_fmamk_f32 v68, v97, 0x3f06c442, v254
	v_dual_mov_b32 v30, v141 :: v_dual_mov_b32 v31, v142
	v_mov_b32_e32 v143, v120
	s_delay_alu instid0(VALU_DEP_3) | instskip(SKIP_3) | instid1(VALU_DEP_4)
	v_dual_mov_b32 v145, v122 :: v_dual_add_f32 v68, v172, v68
	v_mov_b32_e32 v142, v119
	v_dual_mov_b32 v144, v121 :: v_dual_mul_f32 v121, 0xbf4c4adb, v84
	v_mul_f32_e32 v122, 0x3f763a35, v85
	v_dual_add_f32 v68, v69, v68 :: v_dual_fmamk_f32 v69, v90, 0x3f7ee86f, v182
	v_mul_f32_e32 v185, 0xbf7ee86f, v173
	scratch_store_b64 off, v[28:29], off offset:64 ; 8-byte Folded Spill
	v_fmamk_f32 v72, v87, 0xbe8c1d8e, v122
	v_mul_f32_e32 v186, 0x3f4c4adb, v234
	v_dual_add_f32 v68, v69, v68 :: v_dual_fmamk_f32 v69, v88, 0xbf4c4adb, v176
	v_mul_f32_e32 v120, 0x3f3d2fb0, v110
	v_fmac_f32_e32 v115, 0x3f763a35, v86
	v_mul_f32_e32 v119, 0x3dbcf732, v109
	v_mul_f32_e32 v117, 0x3f6eb680, v80
	v_dual_add_f32 v68, v69, v68 :: v_dual_mul_f32 v177, 0x3f6eb680, v109
	v_mul_f32_e32 v141, 0x3f7ee86f, v235
	v_mul_f32_e32 v129, 0x3ee437d1, v158
	;; [unrolled: 1-line block ×4, first 2 shown]
	v_fmamk_f32 v69, v94, 0x3eb8f4ab, v177
	v_mul_f32_e32 v221, 0xbf4c4adb, v159
	v_mul_f32_e32 v217, 0xbf7ba420, v83
	;; [unrolled: 1-line block ×3, first 2 shown]
	s_delay_alu instid0(VALU_DEP_4) | instskip(SKIP_4) | instid1(VALU_DEP_4)
	v_dual_mul_f32 v215, 0x3f6eb680, v81 :: v_dual_add_f32 v68, v69, v68
	v_fmamk_f32 v69, v91, 0x3e3c28d5, v178
	v_mul_f32_e32 v222, 0xbeb8f4ab, v237
	v_mul_f32_e32 v229, 0x3eb8f4ab, v234
	v_fmamk_f32 v75, v86, 0x3e3c28d5, v217
	v_dual_mul_f32 v227, 0xbf65296c, v235 :: v_dual_add_f32 v68, v69, v68
	v_fmamk_f32 v69, v96, 0xbf59a7d5, v179
	v_fmamk_f32 v77, v86, 0x3f4c4adb, v198
	v_mul_f32_e32 v195, 0xbf7ba420, v80
	v_mul_f32_e32 v193, 0x3f3d2fb0, v109
	;; [unrolled: 1-line block ×3, first 2 shown]
	v_add_f32_e32 v69, v171, v69
	v_mul_f32_e32 v209, 0x3e3c28d5, v173
	v_mul_f32_e32 v201, 0x3f6eb680, v82
	;; [unrolled: 1-line block ×3, first 2 shown]
	v_fmac_f32_e32 v255, 0x3f65296c, v86
	v_add_f32_e32 v69, v70, v69
	v_fmamk_f32 v70, v98, 0xbf2c7751, v184
	v_fmamk_f32 v79, v86, 0x3f7ee86f, v161
	v_fmac_f32_e32 v241, 0x3f2c7751, v88
	v_fmac_f32_e32 v243, 0x3f65296c, v91
	s_delay_alu instid0(VALU_DEP_4) | instskip(SKIP_4) | instid1(VALU_DEP_4)
	v_dual_fmac_f32 v239, 0x3eb8f4ab, v86 :: v_dual_add_f32 v68, v70, v68
	v_fmamk_f32 v70, v92, 0x3dbcf732, v185
	v_fmac_f32_e32 v247, 0xbf763a35, v98
	v_fmac_f32_e32 v177, 0xbeb8f4ab, v94
	;; [unrolled: 1-line block ×3, first 2 shown]
	v_dual_add_f32 v69, v70, v69 :: v_dual_fmamk_f32 v70, v89, 0xbf1a4643, v186
	s_delay_alu instid0(VALU_DEP_1) | instskip(NEXT) | instid1(VALU_DEP_1)
	v_dual_add_f32 v69, v70, v69 :: v_dual_fmamk_f32 v70, v95, 0x3f6eb680, v187
	v_dual_fmac_f32 v252, 0x3f7ee86f, v100 :: v_dual_add_f32 v69, v70, v69
	v_fmamk_f32 v70, v93, 0xbf7ba420, v188
	s_delay_alu instid0(VALU_DEP_1) | instskip(NEXT) | instid1(VALU_DEP_1)
	v_dual_add_f32 v69, v70, v69 :: v_dual_fmamk_f32 v70, v99, 0x3f3d2fb0, v105
	v_dual_add_f32 v70, v70, v69 :: v_dual_fmamk_f32 v69, v100, 0x3f763a35, v190
	v_fmac_f32_e32 v190, 0xbf763a35, v100
	s_delay_alu instid0(VALU_DEP_2) | instskip(SKIP_1) | instid1(VALU_DEP_1)
	v_add_f32_e32 v29, v69, v68
	v_fmamk_f32 v68, v101, 0xbe8c1d8e, v191
	v_add_f32_e32 v28, v68, v70
	v_fmamk_f32 v70, v97, 0x3f4c4adb, v114
	v_dual_mov_b32 v68, v131 :: v_dual_mov_b32 v69, v132
	v_mul_f32_e32 v131, 0xbe8c1d8e, v82
	scratch_store_b64 off, v[28:29], off offset:76 ; 8-byte Folded Spill
	v_add_f32_e32 v70, v172, v70
	s_clause 0x1
	scratch_store_b32 off, v169, off offset:32
	scratch_store_b32 off, v170, off offset:36
	v_dual_mov_b32 v170, v148 :: v_dual_mov_b32 v169, v147
	v_dual_mov_b32 v147, v124 :: v_dual_add_f32 v70, v71, v70
	v_dual_fmamk_f32 v71, v90, 0x3eb8f4ab, v117 :: v_dual_mov_b32 v146, v123
	v_mul_f32_e32 v123, 0xbf7ba420, v189
	v_mul_f32_e32 v124, 0xbeb8f4ab, v173
	v_mul_f32_e32 v132, 0xbf59a7d5, v83
	s_delay_alu instid0(VALU_DEP_4) | instskip(SKIP_2) | instid1(VALU_DEP_4)
	v_dual_add_f32 v70, v71, v70 :: v_dual_fmamk_f32 v71, v88, 0x3f06c442, v118
	v_mul_f32_e32 v148, 0xbf06c442, v234
	v_fmamk_f32 v83, v86, 0x3f2c7751, v157
	v_fmamk_f32 v73, v86, 0xbf06c442, v132
	;; [unrolled: 1-line block ×3, first 2 shown]
	v_dual_add_f32 v70, v71, v70 :: v_dual_fmamk_f32 v71, v94, 0xbf7ee86f, v119
	v_fmac_f32_e32 v119, 0x3f7ee86f, v94
	v_fmac_f32_e32 v117, 0xbeb8f4ab, v90
	;; [unrolled: 1-line block ×3, first 2 shown]
	s_delay_alu instid0(VALU_DEP_4) | instskip(SKIP_3) | instid1(VALU_DEP_3)
	v_dual_fmac_f32 v201, 0xbeb8f4ab, v97 :: v_dual_add_f32 v70, v71, v70
	v_fmamk_f32 v71, v91, 0x3f2c7751, v120
	v_fmac_f32_e32 v238, 0xbe3c28d5, v97
	v_fmac_f32_e32 v157, 0xbf2c7751, v86
	v_dual_add_f32 v70, v71, v70 :: v_dual_fmamk_f32 v71, v96, 0xbf1a4643, v121
	s_delay_alu instid0(VALU_DEP_1) | instskip(NEXT) | instid1(VALU_DEP_1)
	v_add_f32_e32 v71, v171, v71
	v_dual_add_f32 v71, v72, v71 :: v_dual_fmamk_f32 v72, v98, 0x3e3c28d5, v123
	v_fmac_f32_e32 v123, 0xbe3c28d5, v98
	s_delay_alu instid0(VALU_DEP_2) | instskip(SKIP_1) | instid1(VALU_DEP_1)
	v_add_f32_e32 v70, v72, v70
	v_fmamk_f32 v72, v92, 0x3f6eb680, v124
	v_dual_add_f32 v71, v72, v71 :: v_dual_fmamk_f32 v72, v89, 0xbf59a7d5, v148
	s_delay_alu instid0(VALU_DEP_1) | instskip(NEXT) | instid1(VALU_DEP_1)
	v_dual_add_f32 v71, v72, v71 :: v_dual_fmamk_f32 v72, v95, 0x3dbcf732, v141
	v_dual_add_f32 v71, v72, v71 :: v_dual_fmamk_f32 v72, v93, 0x3f3d2fb0, v160
	s_delay_alu instid0(VALU_DEP_1) | instskip(SKIP_1) | instid1(VALU_DEP_2)
	v_dual_fmac_f32 v114, 0xbf4c4adb, v97 :: v_dual_add_f32 v71, v72, v71
	v_fmamk_f32 v72, v99, 0xbf7ba420, v108
	v_add_f32_e32 v114, v172, v114
	s_delay_alu instid0(VALU_DEP_2) | instskip(SKIP_1) | instid1(VALU_DEP_3)
	v_add_f32_e32 v72, v72, v71
	v_fmamk_f32 v71, v100, 0xbf65296c, v129
	v_dual_fmac_f32 v129, 0x3f65296c, v100 :: v_dual_add_f32 v114, v115, v114
	v_fma_f32 v115, 0xbf1a4643, v96, -v121
	s_delay_alu instid0(VALU_DEP_3) | instskip(SKIP_1) | instid1(VALU_DEP_3)
	v_dual_add_f32 v29, v71, v70 :: v_dual_fmamk_f32 v70, v101, 0x3ee437d1, v130
	v_mul_f32_e32 v71, 0xbf763a35, v84
	v_add_f32_e32 v115, v171, v115
	v_fma_f32 v121, 0xbe8c1d8e, v87, -v122
	v_mul_f32_e32 v210, 0xbeb8f4ab, v84
	v_add_f32_e32 v28, v70, v72
	v_fmamk_f32 v72, v97, 0x3f763a35, v131
	s_delay_alu instid0(VALU_DEP_4)
	v_dual_mul_f32 v70, 0x3f06c442, v85 :: v_dual_add_f32 v115, v121, v115
	v_add_f32_e32 v114, v117, v114
	scratch_store_b64 off, v[28:29], off offset:84 ; 8-byte Folded Spill
	v_mov_b32_e32 v28, v133
	v_dual_add_f32 v72, v172, v72 :: v_dual_mov_b32 v29, v134
	v_mul_f32_e32 v133, 0x3f3d2fb0, v80
	v_mul_f32_e32 v134, 0x3ee437d1, v81
	s_clause 0x2
	scratch_store_b32 off, v149, off offset:24
	scratch_store_b32 off, v150, off offset:28
	;; [unrolled: 1-line block ×3, first 2 shown]
	v_dual_mul_f32 v139, 0x3f6eb680, v189 :: v_dual_add_f32 v72, v73, v72
	v_dual_fmamk_f32 v73, v90, 0xbf2c7751, v133 :: v_dual_mov_b32 v150, v136
	v_mov_b32_e32 v149, v135
	v_mul_f32_e32 v135, 0xbf7ba420, v109
	v_mul_f32_e32 v136, 0x3dbcf732, v110
	s_delay_alu instid0(VALU_DEP_4)
	v_dual_add_f32 v72, v73, v72 :: v_dual_fmamk_f32 v73, v88, 0x3f65296c, v134
	v_fmamk_f32 v74, v87, 0xbf59a7d5, v70
	v_mul_f32_e32 v110, 0xbf1a4643, v110
	v_add_f32_e32 v82, v172, v82
	v_fma_f32 v117, 0x3f6eb680, v92, -v124
	v_dual_add_f32 v72, v73, v72 :: v_dual_fmamk_f32 v73, v94, 0x3e3c28d5, v135
	v_add_f32_e32 v114, v118, v114
	s_delay_alu instid0(VALU_DEP_4) | instskip(SKIP_3) | instid1(VALU_DEP_3)
	v_add_f32_e32 v82, v83, v82
	v_fma_f32 v83, 0xbf7ba420, v96, -v244
	v_mul_f32_e32 v162, 0xbf1a4643, v80
	v_dual_add_f32 v72, v73, v72 :: v_dual_fmamk_f32 v73, v91, 0xbf7ee86f, v136
	v_dual_fmamk_f32 v80, v90, 0x3f65296c, v156 :: v_dual_add_f32 v83, v171, v83
	v_add_f32_e32 v115, v117, v115
	v_fma_f32 v117, 0xbf59a7d5, v89, -v148
	s_delay_alu instid0(VALU_DEP_4) | instskip(SKIP_1) | instid1(VALU_DEP_3)
	v_dual_add_f32 v72, v73, v72 :: v_dual_fmamk_f32 v73, v96, 0xbe8c1d8e, v71
	v_dual_add_f32 v114, v119, v114 :: v_dual_mov_b32 v121, v144
	v_add_f32_e32 v115, v117, v115
	s_delay_alu instid0(VALU_DEP_3)
	v_dual_mov_b32 v122, v145 :: v_dual_add_f32 v73, v171, v73
	v_fma_f32 v117, 0x3dbcf732, v95, -v141
	v_fmac_f32_e32 v131, 0xbf763a35, v97
	v_fmac_f32_e32 v133, 0x3f2c7751, v90
	v_dual_fmac_f32 v178, 0xbe3c28d5, v91 :: v_dual_fmac_f32 v135, 0xbe3c28d5, v94
	v_add_f32_e32 v73, v74, v73
	v_dual_fmamk_f32 v74, v98, 0x3eb8f4ab, v139 :: v_dual_add_f32 v115, v117, v115
	v_fma_f32 v117, 0x3f3d2fb0, v93, -v160
	s_delay_alu instid0(VALU_DEP_2) | instskip(NEXT) | instid1(VALU_DEP_2)
	v_dual_fmac_f32 v139, 0xbeb8f4ab, v98 :: v_dual_add_f32 v72, v74, v72
	v_dual_fmamk_f32 v74, v92, 0x3f3d2fb0, v233 :: v_dual_add_f32 v115, v117, v115
	v_fma_f32 v117, 0xbf7ba420, v99, -v108
	s_delay_alu instid0(VALU_DEP_2) | instskip(SKIP_1) | instid1(VALU_DEP_3)
	v_dual_fmac_f32 v240, 0xbf06c442, v90 :: v_dual_add_f32 v73, v74, v73
	v_fmamk_f32 v74, v89, 0x3ee437d1, v232
	v_add_f32_e32 v115, v117, v115
	v_fma_f32 v117, 0x3ee437d1, v101, -v130
	s_delay_alu instid0(VALU_DEP_3) | instskip(NEXT) | instid1(VALU_DEP_1)
	v_dual_add_f32 v73, v74, v73 :: v_dual_fmamk_f32 v74, v95, 0xbf7ba420, v231
	v_dual_add_f32 v73, v74, v73 :: v_dual_fmamk_f32 v74, v93, 0x3dbcf732, v225
	s_delay_alu instid0(VALU_DEP_1) | instskip(SKIP_1) | instid1(VALU_DEP_2)
	v_dual_add_f32 v73, v74, v73 :: v_dual_fmamk_f32 v74, v99, 0x3f6eb680, v222
	v_fmac_f32_e32 v132, 0x3f06c442, v86
	v_dual_add_f32 v74, v74, v73 :: v_dual_fmamk_f32 v73, v100, 0x3f4c4adb, v220
	s_delay_alu instid0(VALU_DEP_1) | instskip(SKIP_2) | instid1(VALU_DEP_2)
	v_add_f32_e32 v73, v73, v72
	v_fmamk_f32 v72, v101, 0xbf1a4643, v221
	v_fmac_f32_e32 v134, 0xbf65296c, v88
	v_add_f32_e32 v72, v72, v74
	v_fmamk_f32 v74, v97, 0x3f7ee86f, v216
	scratch_store_b64 off, v[72:73], off offset:96 ; 8-byte Folded Spill
	v_add_f32_e32 v74, v172, v74
	v_mul_f32_e32 v72, 0xbf65296c, v84
	v_mul_f32_e32 v214, 0x3ee437d1, v109
	;; [unrolled: 1-line block ×3, first 2 shown]
	v_fma_f32 v84, 0x3f6eb680, v87, -v245
	v_dual_add_f32 v74, v75, v74 :: v_dual_fmamk_f32 v75, v90, 0xbf763a35, v218
	v_mul_f32_e32 v164, 0xbf7ba420, v81
	v_fmamk_f32 v81, v88, 0x3f7ee86f, v155
	s_delay_alu instid0(VALU_DEP_4) | instskip(SKIP_4) | instid1(VALU_DEP_4)
	v_add_f32_e32 v83, v84, v83
	v_fma_f32 v84, 0xbf59a7d5, v92, -v246
	v_dual_add_f32 v74, v75, v74 :: v_dual_fmamk_f32 v75, v88, 0xbeb8f4ab, v215
	v_fmac_f32_e32 v155, 0xbf7ee86f, v88
	v_fmac_f32_e32 v215, 0x3eb8f4ab, v88
	v_add_f32_e32 v83, v84, v83
	v_fma_f32 v84, 0x3f3d2fb0, v89, -v248
	v_dual_add_f32 v74, v75, v74 :: v_dual_fmamk_f32 v75, v94, 0x3f65296c, v214
	s_delay_alu instid0(VALU_DEP_2) | instskip(SKIP_1) | instid1(VALU_DEP_3)
	v_dual_mul_f32 v174, 0x3ee437d1, v189 :: v_dual_add_f32 v83, v84, v83
	v_fma_f32 v84, 0xbf1a4643, v95, -v249
	v_add_f32_e32 v74, v75, v74
	v_fmamk_f32 v75, v91, 0x3f06c442, v213
	s_delay_alu instid0(VALU_DEP_3) | instskip(SKIP_1) | instid1(VALU_DEP_3)
	v_add_f32_e32 v83, v84, v83
	v_fma_f32 v84, 0x3ee437d1, v93, -v116
	v_dual_add_f32 v74, v75, v74 :: v_dual_fmamk_f32 v75, v96, 0x3dbcf732, v223
	s_delay_alu instid0(VALU_DEP_2) | instskip(SKIP_1) | instid1(VALU_DEP_3)
	v_add_f32_e32 v83, v84, v83
	v_fma_f32 v84, 0xbe8c1d8e, v99, -v106
	v_add_f32_e32 v75, v171, v75
	s_delay_alu instid0(VALU_DEP_2) | instskip(NEXT) | instid1(VALU_DEP_2)
	v_add_f32_e32 v84, v84, v83
	v_dual_add_f32 v75, v76, v75 :: v_dual_fmamk_f32 v76, v98, 0xbf4c4adb, v219
	v_fmac_f32_e32 v219, 0x3f4c4adb, v98
	s_delay_alu instid0(VALU_DEP_2) | instskip(SKIP_1) | instid1(VALU_DEP_1)
	v_add_f32_e32 v74, v76, v74
	v_fmamk_f32 v76, v92, 0xbe8c1d8e, v230
	v_dual_add_f32 v75, v76, v75 :: v_dual_fmamk_f32 v76, v89, 0x3f6eb680, v229
	s_delay_alu instid0(VALU_DEP_1) | instskip(NEXT) | instid1(VALU_DEP_1)
	v_dual_add_f32 v75, v76, v75 :: v_dual_fmamk_f32 v76, v95, 0x3ee437d1, v227
	v_dual_add_f32 v75, v76, v75 :: v_dual_fmamk_f32 v76, v93, 0xbf59a7d5, v224
	v_fmac_f32_e32 v213, 0xbf06c442, v91
	s_delay_alu instid0(VALU_DEP_2) | instskip(NEXT) | instid1(VALU_DEP_1)
	v_dual_add_f32 v75, v76, v75 :: v_dual_fmamk_f32 v76, v99, 0xbf1a4643, v228
	v_add_f32_e32 v76, v76, v75
	v_fmamk_f32 v75, v100, 0xbf2c7751, v211
	v_fmac_f32_e32 v211, 0x3f2c7751, v100
	s_delay_alu instid0(VALU_DEP_2) | instskip(NEXT) | instid1(VALU_DEP_1)
	v_dual_add_f32 v75, v75, v74 :: v_dual_fmamk_f32 v74, v101, 0x3f3d2fb0, v212
	v_add_f32_e32 v74, v74, v76
	v_fmamk_f32 v76, v97, 0x3f65296c, v196
	s_delay_alu instid0(VALU_DEP_1) | instskip(NEXT) | instid1(VALU_DEP_1)
	v_add_f32_e32 v76, v172, v76
	v_dual_add_f32 v76, v77, v76 :: v_dual_fmamk_f32 v77, v90, 0xbe3c28d5, v195
	s_delay_alu instid0(VALU_DEP_1) | instskip(SKIP_2) | instid1(VALU_DEP_2)
	v_dual_fmac_f32 v195, 0x3e3c28d5, v90 :: v_dual_add_f32 v76, v77, v76
	v_fmamk_f32 v77, v88, 0xbf763a35, v194
	v_fmac_f32_e32 v194, 0x3f763a35, v88
	v_dual_add_f32 v76, v77, v76 :: v_dual_fmamk_f32 v77, v94, 0xbf2c7751, v193
	s_delay_alu instid0(VALU_DEP_1) | instskip(SKIP_1) | instid1(VALU_DEP_1)
	v_dual_fmac_f32 v193, 0x3f2c7751, v94 :: v_dual_add_f32 v76, v77, v76
	v_fmamk_f32 v77, v91, 0x3eb8f4ab, v192
	v_dual_add_f32 v76, v77, v76 :: v_dual_fmamk_f32 v77, v96, 0x3ee437d1, v72
	s_delay_alu instid0(VALU_DEP_1) | instskip(NEXT) | instid1(VALU_DEP_1)
	v_dual_fmac_f32 v214, 0xbf65296c, v94 :: v_dual_add_f32 v77, v171, v77
	v_add_f32_e32 v77, v78, v77
	v_fmamk_f32 v78, v98, 0x3f7ee86f, v197
	s_delay_alu instid0(VALU_DEP_1) | instskip(SKIP_1) | instid1(VALU_DEP_1)
	v_dual_fmac_f32 v197, 0xbf7ee86f, v98 :: v_dual_add_f32 v76, v78, v76
	v_fmamk_f32 v78, v92, 0xbf7ba420, v209
	v_dual_add_f32 v77, v78, v77 :: v_dual_fmamk_f32 v78, v89, 0xbe8c1d8e, v207
	s_delay_alu instid0(VALU_DEP_1) | instskip(NEXT) | instid1(VALU_DEP_1)
	v_dual_add_f32 v77, v78, v77 :: v_dual_fmamk_f32 v78, v95, 0x3f3d2fb0, v206
	v_dual_fmac_f32 v218, 0x3f763a35, v90 :: v_dual_add_f32 v77, v78, v77
	v_fmamk_f32 v78, v93, 0x3f6eb680, v204
	s_delay_alu instid0(VALU_DEP_1) | instskip(NEXT) | instid1(VALU_DEP_1)
	v_dual_add_f32 v77, v78, v77 :: v_dual_fmamk_f32 v78, v99, 0x3dbcf732, v73
	v_dual_add_f32 v78, v78, v77 :: v_dual_fmamk_f32 v77, v100, 0x3f06c442, v200
	v_fmac_f32_e32 v200, 0xbf06c442, v100
	s_delay_alu instid0(VALU_DEP_2) | instskip(SKIP_1) | instid1(VALU_DEP_2)
	v_dual_fmac_f32 v120, 0xbf2c7751, v91 :: v_dual_add_f32 v77, v77, v76
	v_fmamk_f32 v76, v101, 0xbf59a7d5, v208
	v_dual_add_f32 v114, v120, v114 :: v_dual_mov_b32 v119, v142
	v_mov_b32_e32 v120, v143
	v_mov_b32_e32 v144, v138
	s_delay_alu instid0(VALU_DEP_4) | instskip(SKIP_3) | instid1(VALU_DEP_3)
	v_add_f32_e32 v76, v76, v78
	v_fmamk_f32 v78, v97, 0x3f2c7751, v166
	v_dual_mov_b32 v143, v137 :: v_dual_mov_b32 v142, v31
	v_dual_mov_b32 v141, v30 :: v_dual_add_f32 v114, v123, v114
	v_dual_add_f32 v78, v172, v78 :: v_dual_mov_b32 v123, v146
	v_dual_mov_b32 v124, v147 :: v_dual_mov_b32 v145, v202
	v_fmac_f32_e32 v254, 0xbf06c442, v97
	s_delay_alu instid0(VALU_DEP_3) | instskip(SKIP_3) | instid1(VALU_DEP_4)
	v_dual_add_f32 v78, v79, v78 :: v_dual_fmamk_f32 v79, v90, 0x3f4c4adb, v162
	v_dual_mov_b32 v147, v169 :: v_dual_fmac_f32 v166, 0xbf2c7751, v97
	v_fmac_f32_e32 v161, 0xbf7ee86f, v86
	v_fmac_f32_e32 v162, 0xbf4c4adb, v90
	v_dual_add_f32 v78, v79, v78 :: v_dual_fmamk_f32 v79, v88, 0x3e3c28d5, v164
	v_fmac_f32_e32 v164, 0xbe3c28d5, v88
	v_mov_b32_e32 v146, v203
	s_delay_alu instid0(VALU_DEP_3) | instskip(SKIP_1) | instid1(VALU_DEP_2)
	v_dual_add_f32 v78, v79, v78 :: v_dual_fmamk_f32 v79, v94, 0xbf06c442, v165
	v_fmac_f32_e32 v165, 0x3f06c442, v94
	v_add_f32_e32 v78, v79, v78
	v_fmamk_f32 v79, v91, 0xbf763a35, v167
	s_delay_alu instid0(VALU_DEP_1) | instskip(SKIP_1) | instid1(VALU_DEP_1)
	v_dual_fmac_f32 v167, 0x3f763a35, v91 :: v_dual_add_f32 v78, v79, v78
	v_fmamk_f32 v79, v96, 0x3f3d2fb0, v199
	v_add_f32_e32 v79, v171, v79
	s_delay_alu instid0(VALU_DEP_1) | instskip(SKIP_2) | instid1(VALU_DEP_2)
	v_add_f32_e32 v79, v102, v79
	v_fmamk_f32 v102, v98, 0xbf65296c, v174
	v_fmac_f32_e32 v174, 0x3f65296c, v98
	v_add_f32_e32 v78, v102, v78
	v_mul_f32_e32 v102, 0xbf4c4adb, v173
	v_mul_f32_e32 v173, 0xbf65296c, v173
	scratch_store_b32 off, v102, off offset:124 ; 4-byte Folded Spill
	v_fmamk_f32 v102, v92, 0xbf1a4643, v102
	s_delay_alu instid0(VALU_DEP_1)
	v_dual_add_f32 v79, v102, v79 :: v_dual_mul_f32 v102, 0xbe3c28d5, v234
	v_add_f32_e32 v234, v117, v115
	v_fma_f32 v115, 0xbe8c1d8e, v96, -v71
	v_fma_f32 v117, 0xbf59a7d5, v87, -v70
	scratch_store_b32 off, v102, off offset:120 ; 4-byte Folded Spill
	v_dual_fmamk_f32 v102, v89, 0xbf7ba420, v102 :: v_dual_add_f32 v115, v171, v115
	s_delay_alu instid0(VALU_DEP_1) | instskip(NEXT) | instid1(VALU_DEP_2)
	v_dual_fmac_f32 v242, 0xbf4c4adb, v94 :: v_dual_add_f32 v79, v102, v79
	v_add_f32_e32 v115, v117, v115
	v_mul_f32_e32 v102, 0x3f06c442, v235
	v_fma_f32 v117, 0x3f3d2fb0, v92, -v233
	scratch_store_b32 off, v102, off offset:116 ; 4-byte Folded Spill
	v_dual_fmamk_f32 v102, v95, 0xbf59a7d5, v102 :: v_dual_add_f32 v115, v117, v115
	v_fma_f32 v117, 0x3ee437d1, v89, -v232
	s_delay_alu instid0(VALU_DEP_2) | instskip(SKIP_1) | instid1(VALU_DEP_3)
	v_dual_add_f32 v79, v102, v79 :: v_dual_mul_f32 v102, 0x3f763a35, v236
	v_mul_f32_e32 v236, 0xbf4c4adb, v236
	v_dual_fmac_f32 v196, 0xbf65296c, v97 :: v_dual_add_f32 v115, v117, v115
	v_fma_f32 v117, 0xbf7ba420, v95, -v231
	scratch_store_b32 off, v102, off offset:112 ; 4-byte Folded Spill
	v_fmamk_f32 v102, v93, 0xbe8c1d8e, v102
	v_add_f32_e32 v115, v117, v115
	v_fma_f32 v117, 0x3dbcf732, v93, -v225
	s_delay_alu instid0(VALU_DEP_3) | instskip(SKIP_1) | instid1(VALU_DEP_3)
	v_dual_add_f32 v79, v102, v79 :: v_dual_mul_f32 v102, 0x3f65296c, v237
	v_dual_mul_f32 v237, 0xbf06c442, v237 :: v_dual_add_f32 v80, v80, v82
	v_add_f32_e32 v115, v117, v115
	v_fma_f32 v117, 0x3f6eb680, v99, -v222
	scratch_store_b32 off, v102, off offset:108 ; 4-byte Folded Spill
	v_dual_fmamk_f32 v102, v99, 0x3ee437d1, v102 :: v_dual_add_f32 v115, v117, v115
	v_fma_f32 v117, 0xbf1a4643, v101, -v221
	s_delay_alu instid0(VALU_DEP_2) | instskip(SKIP_3) | instid1(VALU_DEP_4)
	v_dual_add_f32 v111, v102, v79 :: v_dual_mul_f32 v102, 0x3f6eb680, v158
	v_mul_f32_e32 v158, 0xbf7ba420, v158
	v_add_f32_e32 v80, v81, v80
	v_fmac_f32_e32 v192, 0xbeb8f4ab, v91
	v_fmamk_f32 v79, v100, 0xbeb8f4ab, v102
	s_delay_alu instid0(VALU_DEP_1) | instskip(SKIP_3) | instid1(VALU_DEP_1)
	v_dual_add_f32 v79, v79, v78 :: v_dual_mul_f32 v78, 0x3eb8f4ab, v159
	v_mul_f32_e32 v159, 0xbe3c28d5, v159
	scratch_store_b32 off, v78, off offset:104 ; 4-byte Folded Spill
	v_fmamk_f32 v78, v101, 0x3f6eb680, v78
	v_dual_add_f32 v78, v78, v111 :: v_dual_mul_f32 v111, 0xbe8c1d8e, v109
	v_mul_f32_e32 v109, 0xbf59a7d5, v189
	v_mul_f32_e32 v189, 0xbf2c7751, v85
	v_fma_f32 v85, 0x3dbcf732, v101, -v253
	s_delay_alu instid0(VALU_DEP_4) | instskip(SKIP_1) | instid1(VALU_DEP_4)
	v_fmamk_f32 v81, v94, 0x3f763a35, v111
	v_fmac_f32_e32 v111, 0xbf763a35, v94
	v_fmamk_f32 v82, v87, 0x3f3d2fb0, v189
	v_fmac_f32_e32 v136, 0x3f7ee86f, v91
	s_delay_alu instid0(VALU_DEP_4) | instskip(SKIP_1) | instid1(VALU_DEP_2)
	v_dual_add_f32 v80, v81, v80 :: v_dual_fmamk_f32 v81, v91, 0x3f4c4adb, v110
	v_fmac_f32_e32 v110, 0xbf4c4adb, v91
	v_dual_add_f32 v80, v81, v80 :: v_dual_fmamk_f32 v81, v98, 0x3f06c442, v109
	v_fmac_f32_e32 v109, 0xbf06c442, v98
	v_fmac_f32_e32 v220, 0xbf4c4adb, v100
	s_delay_alu instid0(VALU_DEP_3) | instskip(NEXT) | instid1(VALU_DEP_1)
	v_dual_add_f32 v80, v81, v80 :: v_dual_fmamk_f32 v81, v96, 0x3f6eb680, v210
	v_dual_fmac_f32 v102, 0x3eb8f4ab, v100 :: v_dual_add_f32 v81, v171, v81
	v_fmac_f32_e32 v198, 0xbf4c4adb, v86
	v_fma_f32 v86, 0x3f3d2fb0, v87, -v189
	s_delay_alu instid0(VALU_DEP_3) | instskip(NEXT) | instid1(VALU_DEP_1)
	v_dual_add_f32 v81, v82, v81 :: v_dual_fmamk_f32 v82, v92, 0x3ee437d1, v173
	v_dual_add_f32 v81, v82, v81 :: v_dual_fmamk_f32 v82, v89, 0x3dbcf732, v163
	s_delay_alu instid0(VALU_DEP_1) | instskip(SKIP_4) | instid1(VALU_DEP_1)
	v_dual_add_f32 v81, v82, v81 :: v_dual_mul_f32 v82, 0xbf763a35, v235
	v_dual_add_f32 v235, v129, v114 :: v_dual_mov_b32 v130, v104
	v_mov_b32_e32 v129, v103
	scratch_store_b32 off, v82, off offset:128 ; 4-byte Folded Spill
	v_fmamk_f32 v82, v95, 0xbe8c1d8e, v82
	v_dual_add_f32 v81, v82, v81 :: v_dual_fmamk_f32 v82, v93, 0xbf1a4643, v236
	s_delay_alu instid0(VALU_DEP_1) | instskip(NEXT) | instid1(VALU_DEP_1)
	v_dual_add_f32 v81, v82, v81 :: v_dual_fmamk_f32 v82, v99, 0xbf59a7d5, v237
	v_dual_add_f32 v82, v82, v81 :: v_dual_fmamk_f32 v81, v100, 0x3e3c28d5, v158
	v_fmac_f32_e32 v158, 0xbe3c28d5, v100
	v_fmac_f32_e32 v216, 0xbf7ee86f, v97
	v_fma_f32 v97, 0x3f3d2fb0, v96, -v199
	s_delay_alu instid0(VALU_DEP_4) | instskip(NEXT) | instid1(VALU_DEP_2)
	v_dual_mov_b32 v148, v170 :: v_dual_add_f32 v81, v81, v80
	v_dual_fmamk_f32 v80, v101, 0xbf7ba420, v159 :: v_dual_add_f32 v97, v171, v97
	v_add_f32_e32 v114, v172, v131
	s_delay_alu instid0(VALU_DEP_2) | instskip(SKIP_1) | instid1(VALU_DEP_3)
	v_add_f32_e32 v80, v80, v82
	v_add_f32_e32 v82, v172, v238
	;; [unrolled: 1-line block ×3, first 2 shown]
	v_dual_mov_b32 v132, v69 :: v_dual_mov_b32 v131, v68
	s_delay_alu instid0(VALU_DEP_2) | instskip(NEXT) | instid1(VALU_DEP_1)
	v_add_f32_e32 v114, v133, v114
	v_add_f32_e32 v114, v134, v114
	v_dual_mov_b32 v134, v29 :: v_dual_mov_b32 v133, v28
	s_delay_alu instid0(VALU_DEP_2) | instskip(NEXT) | instid1(VALU_DEP_1)
	v_add_f32_e32 v114, v135, v114
	v_dual_add_f32 v114, v136, v114 :: v_dual_mov_b32 v135, v149
	v_add_f32_e32 v82, v239, v82
	v_mov_b32_e32 v136, v150
	s_delay_alu instid0(VALU_DEP_3) | instskip(SKIP_1) | instid1(VALU_DEP_4)
	v_add_f32_e32 v114, v139, v114
	v_fmac_f32_e32 v176, 0x3f4c4adb, v88
	v_add_f32_e32 v82, v240, v82
	v_fma_f32 v88, 0x3dbcf732, v89, -v163
	s_delay_alu instid0(VALU_DEP_4) | instskip(NEXT) | instid1(VALU_DEP_3)
	v_dual_add_f32 v221, v220, v114 :: v_dual_add_f32 v220, v117, v115
	v_add_f32_e32 v82, v241, v82
	v_fma_f32 v115, 0x3dbcf732, v96, -v223
	v_fmac_f32_e32 v182, 0xbf7ee86f, v90
	v_fma_f32 v117, 0xbf7ba420, v87, -v226
	v_add_f32_e32 v114, v172, v216
	s_delay_alu instid0(VALU_DEP_4) | instskip(NEXT) | instid1(VALU_DEP_2)
	v_dual_add_f32 v82, v242, v82 :: v_dual_add_f32 v115, v171, v115
	v_add_f32_e32 v114, v217, v114
	s_delay_alu instid0(VALU_DEP_2) | instskip(SKIP_1) | instid1(VALU_DEP_3)
	v_dual_add_f32 v82, v243, v82 :: v_dual_add_f32 v115, v117, v115
	v_fma_f32 v117, 0xbe8c1d8e, v92, -v230
	v_add_f32_e32 v114, v218, v114
	s_delay_alu instid0(VALU_DEP_2) | instskip(SKIP_2) | instid1(VALU_DEP_3)
	v_dual_add_f32 v82, v247, v82 :: v_dual_add_f32 v115, v117, v115
	v_fma_f32 v117, 0x3f6eb680, v89, -v229
	v_fmac_f32_e32 v184, 0x3f2c7751, v98
	v_dual_add_f32 v83, v252, v82 :: v_dual_add_f32 v82, v85, v84
	v_add_f32_e32 v84, v172, v254
	v_fma_f32 v85, 0xbf59a7d5, v96, -v179
	v_mov_b32_e32 v179, v140
	v_fma_f32 v140, 0x3ee437d1, v87, -v183
	s_delay_alu instid0(VALU_DEP_4) | instskip(NEXT) | instid1(VALU_DEP_4)
	v_dual_add_f32 v115, v117, v115 :: v_dual_add_f32 v84, v255, v84
	v_add_f32_e32 v85, v171, v85
	v_fma_f32 v117, 0x3ee437d1, v95, -v227
	scratch_load_b32 v183, off, off offset:48 ; 4-byte Folded Reload
	v_add_f32_e32 v114, v215, v114
	v_dual_add_f32 v84, v182, v84 :: v_dual_add_f32 v85, v140, v85
	v_fma_f32 v140, 0x3dbcf732, v92, -v185
	v_add_f32_e32 v115, v117, v115
	v_fma_f32 v117, 0xbf59a7d5, v93, -v224
	s_delay_alu instid0(VALU_DEP_4)
	v_add_f32_e32 v84, v176, v84
	v_fma_f32 v176, 0xbe8c1d8e, v101, -v191
	v_add_f32_e32 v85, v140, v85
	v_fma_f32 v140, 0xbf1a4643, v89, -v186
	v_add_f32_e32 v115, v117, v115
	v_add_f32_e32 v84, v177, v84
	v_fma_f32 v117, 0xbf1a4643, v99, -v228
	scratch_load_b32 v182, off, off offset:44 ; 4-byte Folded Reload
	v_add_f32_e32 v85, v140, v85
	v_fma_f32 v140, 0x3f6eb680, v95, -v187
	v_dual_add_f32 v84, v178, v84 :: v_dual_add_f32 v115, v117, v115
	v_fma_f32 v117, 0x3f3d2fb0, v101, -v212
	v_mov_b32_e32 v177, v250
	s_delay_alu instid0(VALU_DEP_4)
	v_add_f32_e32 v85, v140, v85
	v_fma_f32 v140, 0xbf7ba420, v93, -v188
	v_add_f32_e32 v84, v184, v84
	scratch_load_b32 v184, off, off offset:52 ; 4-byte Folded Reload
	v_mov_b32_e32 v178, v251
	v_dual_add_f32 v114, v214, v114 :: v_dual_add_f32 v85, v140, v85
	v_fma_f32 v140, 0x3f3d2fb0, v99, -v105
	v_fmac_f32_e32 v156, 0xbf65296c, v90
	v_fma_f32 v90, 0x3ee437d1, v92, -v173
	s_delay_alu instid0(VALU_DEP_4) | instskip(NEXT) | instid1(VALU_DEP_4)
	v_add_f32_e32 v114, v213, v114
	v_dual_add_f32 v140, v140, v85 :: v_dual_add_f32 v85, v190, v84
	s_delay_alu instid0(VALU_DEP_2) | instskip(NEXT) | instid1(VALU_DEP_2)
	v_add_f32_e32 v114, v219, v114
	v_add_f32_e32 v84, v176, v140
	v_mov_b32_e32 v140, v179
	s_clause 0x5
	scratch_load_b32 v179, off, off offset:40
	scratch_load_b32 v170, off, off offset:36
	;; [unrolled: 1-line block ×5, first 2 shown]
	scratch_load_b32 v28, off, off offset:124 th:TH_LOAD_LU
	v_mov_b32_e32 v176, v107
	v_dual_add_f32 v212, v211, v114 :: v_dual_add_f32 v211, v117, v115
	v_fma_f32 v115, 0x3ee437d1, v96, -v72
	v_fma_f32 v117, 0xbf1a4643, v87, -v205
	v_add_f32_e32 v114, v172, v196
	v_fma_f32 v96, 0x3f6eb680, v96, -v210
	v_or_b32_e32 v118, 0x60, v140
	s_delay_alu instid0(VALU_DEP_3) | instskip(NEXT) | instid1(VALU_DEP_1)
	v_dual_add_f32 v115, v171, v115 :: v_dual_add_f32 v114, v198, v114
	v_dual_add_f32 v96, v171, v96 :: v_dual_add_f32 v115, v117, v115
	v_fma_f32 v117, 0xbf7ba420, v92, -v209
	s_delay_alu instid0(VALU_DEP_3) | instskip(NEXT) | instid1(VALU_DEP_2)
	v_add_f32_e32 v114, v195, v114
	v_dual_add_f32 v86, v86, v96 :: v_dual_add_f32 v115, v117, v115
	v_fma_f32 v117, 0xbe8c1d8e, v89, -v207
	s_delay_alu instid0(VALU_DEP_3) | instskip(NEXT) | instid1(VALU_DEP_2)
	v_add_f32_e32 v114, v194, v114
	;; [unrolled: 4-line block ×3, first 2 shown]
	v_dual_add_f32 v86, v88, v86 :: v_dual_add_f32 v115, v117, v115
	v_fma_f32 v117, 0x3f6eb680, v93, -v204
	s_delay_alu instid0(VALU_DEP_1) | instskip(SKIP_1) | instid1(VALU_DEP_2)
	v_dual_add_f32 v114, v192, v114 :: v_dual_add_f32 v115, v117, v115
	v_fma_f32 v117, 0x3dbcf732, v99, -v73
	v_add_f32_e32 v114, v197, v114
	s_delay_alu instid0(VALU_DEP_2) | instskip(SKIP_1) | instid1(VALU_DEP_3)
	v_add_f32_e32 v115, v117, v115
	v_fma_f32 v117, 0xbf59a7d5, v101, -v208
	v_add_f32_e32 v193, v200, v114
	v_add_f32_e32 v114, v172, v166
	s_delay_alu instid0(VALU_DEP_3) | instskip(SKIP_1) | instid1(VALU_DEP_3)
	v_add_f32_e32 v192, v117, v115
	v_fma_f32 v117, 0x3dbcf732, v87, -v168
	v_dual_add_f32 v115, v172, v201 :: v_dual_add_f32 v114, v161, v114
	s_delay_alu instid0(VALU_DEP_2) | instskip(SKIP_1) | instid1(VALU_DEP_3)
	v_add_f32_e32 v97, v117, v97
	v_or_b32_e32 v117, 0x180, v140
	v_add_f32_e32 v114, v162, v114
	s_delay_alu instid0(VALU_DEP_1) | instskip(NEXT) | instid1(VALU_DEP_1)
	v_add_f32_e32 v114, v164, v114
	v_add_f32_e32 v114, v165, v114
	s_delay_alu instid0(VALU_DEP_1) | instskip(NEXT) | instid1(VALU_DEP_1)
	v_add_f32_e32 v114, v167, v114
	v_add_f32_e32 v114, v174, v114
	s_wait_loadcnt 0x0
	v_fma_f32 v87, 0xbf1a4643, v92, -v28
	scratch_load_b32 v28, off, off offset:120 th:TH_LOAD_LU ; 4-byte Folded Reload
	v_add_f32_e32 v87, v87, v97
	v_add_f32_e32 v97, v157, v115
	v_or_b32_e32 v115, 0x120, v140
	s_wait_loadcnt 0x0
	v_fma_f32 v92, 0xbf7ba420, v89, -v28
	scratch_load_b32 v28, off, off offset:116 th:TH_LOAD_LU ; 4-byte Folded Reload
	v_add_f32_e32 v87, v92, v87
	v_add_f32_e32 v92, v156, v97
	s_wait_loadcnt 0x0
	v_fma_f32 v89, 0xbf59a7d5, v95, -v28
	scratch_load_b32 v28, off, off offset:128 th:TH_LOAD_LU ; 4-byte Folded Reload
	v_add_f32_e32 v87, v89, v87
	v_add_f32_e32 v89, v155, v92
	v_fma_f32 v92, 0xbf7ba420, v101, -v159
	s_wait_loadcnt 0x0
	v_fma_f32 v88, 0xbe8c1d8e, v95, -v28
	scratch_load_b32 v28, off, off offset:112 th:TH_LOAD_LU ; 4-byte Folded Reload
	v_add_f32_e32 v86, v88, v86
	v_fma_f32 v88, 0xbf1a4643, v93, -v236
	s_delay_alu instid0(VALU_DEP_1) | instskip(SKIP_1) | instid1(VALU_DEP_1)
	v_add_f32_e32 v86, v88, v86
	v_fma_f32 v88, 0xbf59a7d5, v99, -v237
	v_add_f32_e32 v88, v88, v86
	s_delay_alu instid0(VALU_DEP_1)
	v_add_f32_e32 v88, v92, v88
	s_wait_loadcnt 0x0
	v_fma_f32 v90, 0xbe8c1d8e, v93, -v28
	scratch_load_b32 v28, off, off offset:108 th:TH_LOAD_LU ; 4-byte Folded Reload
	v_add_f32_e32 v87, v90, v87
	s_wait_loadcnt 0x0
	v_fma_f32 v90, 0x3ee437d1, v99, -v28
	scratch_load_b32 v28, off, off offset:104 th:TH_LOAD_LU ; 4-byte Folded Reload
	v_dual_add_f32 v90, v90, v87 :: v_dual_add_f32 v89, v111, v89
	s_delay_alu instid0(VALU_DEP_1) | instskip(NEXT) | instid1(VALU_DEP_1)
	v_add_f32_e32 v87, v110, v89
	v_add_f32_e32 v91, v109, v87
	;; [unrolled: 1-line block ×3, first 2 shown]
	v_or_b32_e32 v114, 0xc0, v140
	s_wait_loadcnt 0x0
	v_fma_f32 v89, 0x3f6eb680, v101, -v28
	s_clause 0x1
	scratch_load_b32 v28, off, off offset:72 th:TH_LOAD_LU
	scratch_load_b32 v29, off, off offset:92 th:TH_LOAD_LU
	v_dual_add_f32 v86, v89, v90 :: v_dual_add_f32 v89, v158, v91
	s_wait_loadcnt 0x0
	v_lshl_add_u32 v93, v29, 3, v28
	scratch_load_b64 v[28:29], off, off offset:56 th:TH_LOAD_LU ; 8-byte Folded Reload
	s_wait_loadcnt 0x0
	ds_store_2addr_b64 v93, v[28:29], v[80:81] offset1:1
	ds_store_2addr_b64 v93, v[78:79], v[76:77] offset0:2 offset1:3
	scratch_load_b64 v[28:29], off, off offset:96 th:TH_LOAD_LU ; 8-byte Folded Reload
	s_wait_loadcnt 0x0
	ds_store_2addr_b64 v93, v[74:75], v[28:29] offset0:4 offset1:5
	s_clause 0x1
	scratch_load_b64 v[28:29], off, off offset:76 th:TH_LOAD_LU
	scratch_load_b64 v[30:31], off, off offset:84 th:TH_LOAD_LU
	s_wait_loadcnt 0x0
	ds_store_2addr_b64 v93, v[30:31], v[28:29] offset0:6 offset1:7
	scratch_load_b64 v[28:29], off, off offset:64 th:TH_LOAD_LU ; 8-byte Folded Reload
	s_wait_loadcnt 0x0
	ds_store_2addr_b64 v93, v[28:29], v[82:83] offset0:8 offset1:9
	ds_store_2addr_b64 v93, v[84:85], v[234:235] offset0:10 offset1:11
	;; [unrolled: 1-line block ×4, first 2 shown]
	ds_store_b64 v93, v[88:89] offset:128
.LBB0_13:
	s_wait_alu 0xfffe
	s_or_b32 exec_lo, exec_lo, s0
	global_wb scope:SCOPE_SE
	s_wait_storecnt_dscnt 0x0
	s_barrier_signal -1
	s_barrier_wait -1
	global_inv scope:SCOPE_SE
	ds_load_2addr_b64 v[68:71], v175 offset0:136 offset1:153
	v_add_nc_u32_e32 v28, 0x800, v175
	s_mov_b32 s2, 0x14141414
	s_mov_b32 s3, 0x3f641414
	s_mul_u64 s[8:9], s[4:5], 0x180
	s_wait_dscnt 0x0
	v_mul_f32_e32 v29, v1, v69
	ds_load_2addr_b64 v[72:75], v28 offset0:16 offset1:33
	ds_load_2addr_b64 v[76:79], v175 offset1:17
	ds_load_2addr_b64 v[80:83], v175 offset0:34 offset1:51
	ds_load_2addr_b64 v[84:87], v175 offset0:170 offset1:187
	;; [unrolled: 1-line block ×8, first 2 shown]
	v_mul_f32_e32 v31, v1, v71
	v_mul_f32_e32 v30, v1, v68
	ds_load_2addr_b64 v[155:158], v28 offset0:118 offset1:135
	v_fmac_f32_e32 v29, v0, v68
	global_wb scope:SCOPE_SE
	s_wait_dscnt 0x0
	s_barrier_signal -1
	s_barrier_wait -1
	global_inv scope:SCOPE_SE
	v_dual_mul_f32 v68, v3, v73 :: v_dual_mul_f32 v1, v1, v70
	v_fmac_f32_e32 v31, v0, v70
	v_fma_f32 v30, v0, v69, -v30
	v_mul_f32_e32 v69, v3, v72
	s_delay_alu instid0(VALU_DEP_4)
	v_fmac_f32_e32 v68, v2, v72
	v_fma_f32 v70, v0, v71, -v1
	v_dual_mul_f32 v0, v3, v74 :: v_dual_mul_f32 v1, v25, v84
	v_mul_f32_e32 v72, v27, v105
	v_mul_f32_e32 v71, v3, v75
	v_fma_f32 v3, v2, v73, -v69
	v_mul_f32_e32 v69, v25, v85
	v_fma_f32 v25, v2, v75, -v0
	v_dual_mul_f32 v0, v27, v104 :: v_dual_mul_f32 v27, v21, v87
	v_fmac_f32_e32 v72, v26, v104
	s_delay_alu instid0(VALU_DEP_4)
	v_fmac_f32_e32 v69, v24, v84
	v_fma_f32 v24, v24, v85, -v1
	v_mul_f32_e32 v1, v21, v86
	v_fma_f32 v21, v26, v105, -v0
	v_fmac_f32_e32 v27, v20, v86
	v_mul_f32_e32 v0, v23, v106
	v_dual_fmac_f32 v71, v2, v74 :: v_dual_mul_f32 v26, v23, v107
	v_fma_f32 v20, v20, v87, -v1
	v_dual_mul_f32 v1, v17, v92 :: v_dual_add_f32 v2, v76, v29
	v_mul_f32_e32 v23, v17, v93
	v_fma_f32 v17, v22, v107, -v0
	v_mul_f32_e32 v0, v19, v108
	s_delay_alu instid0(VALU_DEP_4) | instskip(SKIP_2) | instid1(VALU_DEP_4)
	v_fma_f32 v74, v16, v93, -v1
	v_mul_f32_e32 v1, v13, v94
	v_dual_mul_f32 v75, v13, v95 :: v_dual_add_f32 v2, v2, v68
	v_fma_f32 v84, v18, v109, -v0
	v_mul_f32_e32 v0, v15, v110
	s_delay_alu instid0(VALU_DEP_4)
	v_fma_f32 v86, v12, v95, -v1
	v_mul_f32_e32 v1, v9, v100
	v_fmac_f32_e32 v23, v16, v92
	v_fmac_f32_e32 v75, v12, v94
	v_mul_f32_e32 v87, v9, v101
	v_fma_f32 v92, v14, v111, -v0
	v_dual_mul_f32 v93, v11, v156 :: v_dual_add_f32 v12, v80, v69
	v_mul_f32_e32 v0, v11, v155
	v_fma_f32 v94, v8, v101, -v1
	v_mul_f32_e32 v95, v5, v103
	v_sub_f32_e32 v13, v24, v21
	v_mul_f32_e32 v1, v5, v102
	v_dual_fmac_f32 v26, v22, v106 :: v_dual_mul_f32 v73, v19, v109
	v_fmac_f32_e32 v87, v8, v100
	v_fma_f32 v100, v10, v156, -v0
	v_dual_mul_f32 v101, v7, v158 :: v_dual_sub_f32 v16, v69, v72
	v_mul_f32_e32 v0, v7, v157
	v_add_f32_e32 v12, v12, v72
	v_fmac_f32_e32 v95, v4, v102
	v_fma_f32 v102, v4, v103, -v1
	v_dual_add_f32 v1, v29, v68 :: v_dual_add_f32 v4, v30, v3
	v_fmac_f32_e32 v93, v10, v155
	v_fma_f32 v103, v6, v158, -v0
	v_dual_sub_f32 v5, v30, v3 :: v_dual_sub_f32 v22, v20, v17
	s_delay_alu instid0(VALU_DEP_4)
	v_fma_f32 v0, -0.5, v1, v76
	v_fmac_f32_e32 v73, v18, v108
	v_fma_f32 v1, -0.5, v4, v77
	v_dual_sub_f32 v7, v29, v68 :: v_dual_add_f32 v18, v27, v26
	v_add_f32_e32 v19, v82, v27
	v_dual_fmac_f32 v101, v6, v157 :: v_dual_add_f32 v6, v77, v30
	v_fmamk_f32 v4, v5, 0xbf5db3d7, v0
	s_delay_alu instid0(VALU_DEP_4) | instskip(SKIP_1) | instid1(VALU_DEP_4)
	v_dual_fmac_f32 v0, 0x3f5db3d7, v5 :: v_dual_fmamk_f32 v5, v7, 0x3f5db3d7, v1
	v_fma_f32 v82, -0.5, v18, v82
	v_add_f32_e32 v3, v6, v3
	v_add_f32_e32 v6, v31, v71
	v_fmac_f32_e32 v1, 0xbf5db3d7, v7
	v_add_f32_e32 v7, v70, v25
	v_add_f32_e32 v8, v78, v31
	v_sub_f32_e32 v9, v70, v25
	v_fma_f32 v78, -0.5, v6, v78
	v_mul_f32_e32 v85, v15, v111
	v_dual_add_f32 v10, v79, v70 :: v_dual_fmac_f32 v79, -0.5, v7
	v_fmamk_f32 v18, v22, 0xbf5db3d7, v82
	v_fmac_f32_e32 v82, 0x3f5db3d7, v22
	v_add_f32_e32 v22, v88, v23
	v_sub_f32_e32 v11, v31, v71
	v_add_f32_e32 v6, v8, v71
	v_dual_fmamk_f32 v8, v9, 0xbf5db3d7, v78 :: v_dual_fmac_f32 v85, v14, v110
	v_fmac_f32_e32 v78, 0x3f5db3d7, v9
	v_add_f32_e32 v22, v22, v73
	v_sub_f32_e32 v30, v86, v92
	v_dual_add_f32 v7, v10, v25 :: v_dual_add_f32 v10, v69, v72
	v_sub_f32_e32 v25, v74, v84
	v_fmamk_f32 v9, v11, 0x3f5db3d7, v79
	v_fmac_f32_e32 v79, 0xbf5db3d7, v11
	v_add_f32_e32 v11, v24, v21
	v_fma_f32 v10, -0.5, v10, v80
	v_dual_add_f32 v15, v81, v24 :: v_dual_sub_f32 v68, v75, v85
	v_add_f32_e32 v69, v96, v87
	s_delay_alu instid0(VALU_DEP_4) | instskip(NEXT) | instid1(VALU_DEP_4)
	v_fma_f32 v11, -0.5, v11, v81
	v_fmamk_f32 v14, v13, 0xbf5db3d7, v10
	v_fmac_f32_e32 v10, 0x3f5db3d7, v13
	v_add_f32_e32 v13, v15, v21
	v_add_f32_e32 v21, v20, v17
	;; [unrolled: 1-line block ×3, first 2 shown]
	v_fmamk_f32 v15, v16, 0x3f5db3d7, v11
	v_fmac_f32_e32 v11, 0xbf5db3d7, v16
	v_dual_add_f32 v71, v94, v100 :: v_dual_add_f32 v70, v69, v93
	v_add_f32_e32 v16, v19, v26
	v_add_f32_e32 v19, v83, v20
	v_sub_f32_e32 v20, v27, v26
	v_dual_add_f32 v26, v89, v74 :: v_dual_fmac_f32 v83, -0.5, v21
	v_dual_add_f32 v21, v23, v73 :: v_dual_add_f32 v24, v74, v84
	v_sub_f32_e32 v27, v23, v73
	s_delay_alu instid0(VALU_DEP_3) | instskip(SKIP_3) | instid1(VALU_DEP_4)
	v_dual_add_f32 v23, v26, v84 :: v_dual_add_f32 v26, v75, v85
	v_add_f32_e32 v73, v97, v94
	v_fma_f32 v69, -0.5, v71, v97
	v_dual_sub_f32 v74, v87, v93 :: v_dual_add_f32 v75, v98, v95
	v_fma_f32 v90, -0.5, v26, v90
	s_delay_alu instid0(VALU_DEP_4) | instskip(NEXT) | instid1(VALU_DEP_3)
	v_add_f32_e32 v71, v73, v100
	v_dual_add_f32 v26, v29, v85 :: v_dual_fmamk_f32 v73, v74, 0x3f5db3d7, v69
	v_dual_fmac_f32 v69, 0xbf5db3d7, v74 :: v_dual_add_f32 v74, v102, v103
	v_add_f32_e32 v17, v19, v17
	v_dual_fmamk_f32 v19, v20, 0x3f5db3d7, v83 :: v_dual_sub_f32 v80, v95, v101
	v_fmac_f32_e32 v83, 0xbf5db3d7, v20
	v_fma_f32 v20, -0.5, v21, v88
	v_fma_f32 v21, -0.5, v24, v89
	v_add_f32_e32 v31, v91, v86
	v_fmamk_f32 v29, v30, 0xbf5db3d7, v90
	v_fmac_f32_e32 v90, 0x3f5db3d7, v30
	ds_store_2addr_b64 v175, v[2:3], v[4:5] offset1:17
	ds_store_2addr_b64 v175, v[0:1], v[6:7] offset0:34 offset1:51
	v_add_nc_u32_e32 v0, 0x400, v169
	v_fmamk_f32 v24, v25, 0xbf5db3d7, v20
	v_dual_fmac_f32 v20, 0x3f5db3d7, v25 :: v_dual_fmamk_f32 v25, v27, 0x3f5db3d7, v21
	v_fmac_f32_e32 v21, 0xbf5db3d7, v27
	v_add_f32_e32 v27, v86, v92
	v_add_f32_e32 v77, v99, v102
	v_dual_fmac_f32 v99, -0.5, v74 :: v_dual_add_f32 v74, v75, v101
	v_add_nc_u32_e32 v1, 0x800, v149
	s_delay_alu instid0(VALU_DEP_4)
	v_fmac_f32_e32 v91, -0.5, v27
	v_add_f32_e32 v27, v31, v92
	v_add_f32_e32 v31, v87, v93
	;; [unrolled: 1-line block ×3, first 2 shown]
	v_fmamk_f32 v77, v80, 0x3f5db3d7, v99
	v_fmamk_f32 v30, v68, 0x3f5db3d7, v91
	v_fmac_f32_e32 v91, 0xbf5db3d7, v68
	v_fma_f32 v68, -0.5, v31, v96
	v_sub_f32_e32 v31, v94, v100
	s_delay_alu instid0(VALU_DEP_1) | instskip(SKIP_1) | instid1(VALU_DEP_1)
	v_dual_fmac_f32 v99, 0xbf5db3d7, v80 :: v_dual_fmamk_f32 v72, v31, 0xbf5db3d7, v68
	v_dual_fmac_f32 v68, 0x3f5db3d7, v31 :: v_dual_add_f32 v31, v95, v101
	v_fma_f32 v98, -0.5, v31, v98
	v_sub_f32_e32 v31, v102, v103
	s_delay_alu instid0(VALU_DEP_1)
	v_fmamk_f32 v76, v31, 0xbf5db3d7, v98
	v_fmac_f32_e32 v98, 0x3f5db3d7, v31
	ds_store_2addr_b64 v175, v[8:9], v[78:79] offset0:68 offset1:85
	ds_store_2addr_b64 v170, v[12:13], v[14:15] offset0:102 offset1:119
	;; [unrolled: 1-line block ×5, first 2 shown]
	v_add_nc_u32_e32 v0, 0x800, v150
	ds_store_b64 v170, v[10:11] offset:1088
	ds_store_b64 v179, v[82:83] offset:1496
	;; [unrolled: 1-line block ×4, first 2 shown]
	ds_store_2addr_b64 v0, v[70:71], v[72:73] offset0:50 offset1:67
	ds_store_2addr_b64 v1, v[74:75], v[76:77] offset0:101 offset1:118
	ds_store_b64 v150, v[68:69] offset:2720
	ds_store_b64 v149, v[98:99] offset:3128
	global_wb scope:SCOPE_SE
	s_wait_dscnt 0x0
	s_barrier_signal -1
	s_barrier_wait -1
	global_inv scope:SCOPE_SE
	ds_load_2addr_b64 v[0:3], v175 offset0:34 offset1:51
	ds_load_2addr_b64 v[4:7], v175 offset0:102 offset1:119
	ds_load_2addr_b64 v[8:11], v175 offset0:136 offset1:153
	ds_load_2addr_b64 v[12:15], v175 offset0:204 offset1:221
	ds_load_2addr_b64 v[16:19], v175 offset1:17
	ds_load_2addr_b64 v[20:23], v175 offset0:238 offset1:255
	ds_load_2addr_b64 v[24:27], v28 offset0:50 offset1:67
	;; [unrolled: 1-line block ×7, first 2 shown]
	s_wait_dscnt 0xb
	v_mul_f32_e32 v30, v65, v2
	v_mul_f32_e32 v29, v65, v3
	s_wait_dscnt 0xa
	v_mul_f32_e32 v31, v67, v4
	s_delay_alu instid0(VALU_DEP_3) | instskip(SKIP_3) | instid1(VALU_DEP_2)
	v_fma_f32 v3, v64, v3, -v30
	s_wait_dscnt 0x9
	v_mul_f32_e32 v30, v53, v11
	v_mul_f32_e32 v53, v53, v10
	v_fmac_f32_e32 v30, v52, v10
	s_delay_alu instid0(VALU_DEP_2) | instskip(SKIP_4) | instid1(VALU_DEP_3)
	v_fma_f32 v10, v52, v11, -v53
	v_dual_fmac_f32 v29, v64, v2 :: v_dual_mul_f32 v2, v67, v5
	s_wait_dscnt 0x8
	v_mul_f32_e32 v11, v55, v12
	v_mul_f32_e32 v52, v59, v9
	v_fmac_f32_e32 v2, v66, v4
	v_fma_f32 v4, v66, v5, -v31
	v_mul_f32_e32 v5, v55, v13
	s_wait_dscnt 0x6
	v_mul_f32_e32 v31, v41, v23
	v_fma_f32 v11, v54, v13, -v11
	s_wait_dscnt 0x5
	v_mul_f32_e32 v13, v43, v24
	v_mul_f32_e32 v55, v47, v21
	v_dual_fmac_f32 v5, v54, v12 :: v_dual_mul_f32 v12, v41, v22
	v_mul_f32_e32 v41, v43, v25
	v_fmac_f32_e32 v31, v40, v22
	v_fma_f32 v13, v42, v25, -v13
	s_wait_dscnt 0x2
	v_mul_f32_e32 v43, v49, v77
	v_fma_f32 v12, v40, v23, -v12
	v_dual_mul_f32 v40, v63, v7 :: v_dual_fmac_f32 v41, v42, v24
	s_delay_alu instid0(VALU_DEP_3) | instskip(SKIP_1) | instid1(VALU_DEP_3)
	v_dual_mul_f32 v42, v63, v6 :: v_dual_fmac_f32 v43, v48, v76
	v_mul_f32_e32 v24, v61, v73
	v_fmac_f32_e32 v40, v62, v6
	v_dual_mul_f32 v6, v49, v76 :: v_dual_mul_f32 v49, v51, v15
	s_delay_alu instid0(VALU_DEP_4)
	v_fma_f32 v42, v62, v7, -v42
	v_mul_f32_e32 v7, v51, v14
	s_wait_dscnt 0x1
	v_mul_f32_e32 v51, v37, v81
	v_fma_f32 v48, v48, v77, -v6
	v_dual_mul_f32 v6, v37, v80 :: v_dual_fmac_f32 v49, v50, v14
	v_fma_f32 v37, v50, v15, -v7
	v_mul_f32_e32 v50, v39, v27
	v_mul_f32_e32 v7, v39, v26
	v_fmac_f32_e32 v51, v36, v80
	v_fma_f32 v36, v36, v81, -v6
	s_wait_dscnt 0x0
	v_mul_f32_e32 v6, v152, v84
	v_fmac_f32_e32 v50, v38, v26
	v_fma_f32 v26, v38, v27, -v7
	v_mul_f32_e32 v7, v57, v74
	v_mul_f32_e32 v38, v57, v75
	v_fma_f32 v27, v151, v85, -v6
	v_mul_f32_e32 v6, v59, v8
	v_mul_f32_e32 v54, v45, v79
	v_fma_f32 v53, v56, v75, -v7
	v_fmac_f32_e32 v55, v46, v20
	v_mul_f32_e32 v7, v45, v78
	v_fma_f32 v45, v58, v9, -v6
	v_dual_mul_f32 v6, v47, v20 :: v_dual_mul_f32 v47, v33, v83
	v_mul_f32_e32 v22, v154, v71
	v_dual_fmac_f32 v24, v60, v72 :: v_dual_mul_f32 v23, v154, v70
	v_fmac_f32_e32 v38, v56, v74
	v_fmac_f32_e32 v54, v44, v78
	v_fma_f32 v44, v44, v79, -v7
	v_fma_f32 v46, v46, v21, -v6
	v_mul_f32_e32 v6, v33, v82
	v_fmac_f32_e32 v47, v32, v82
	v_mul_f32_e32 v33, v35, v69
	v_dual_mul_f32 v7, v35, v68 :: v_dual_fmac_f32 v22, v153, v70
	v_fma_f32 v23, v153, v71, -v23
	v_fma_f32 v56, v32, v83, -v6
	s_delay_alu instid0(VALU_DEP_4) | instskip(SKIP_4) | instid1(VALU_DEP_4)
	v_fmac_f32_e32 v33, v34, v68
	v_sub_f32_e32 v5, v16, v5
	v_fma_f32 v34, v34, v69, -v7
	v_dual_sub_f32 v6, v17, v11 :: v_dual_sub_f32 v7, v2, v41
	v_dual_sub_f32 v9, v4, v13 :: v_dual_fmac_f32 v52, v58, v8
	v_fma_f32 v8, v16, 2.0, -v5
	s_delay_alu instid0(VALU_DEP_3) | instskip(NEXT) | instid1(VALU_DEP_4)
	v_fma_f32 v13, v17, 2.0, -v6
	v_fma_f32 v2, v2, 2.0, -v7
	s_delay_alu instid0(VALU_DEP_4) | instskip(SKIP_3) | instid1(VALU_DEP_4)
	v_fma_f32 v4, v4, 2.0, -v9
	v_sub_f32_e32 v15, v30, v22
	v_sub_f32_e32 v16, v10, v23
	v_dual_sub_f32 v11, v29, v31 :: v_dual_sub_f32 v12, v3, v12
	v_dual_sub_f32 v17, v8, v2 :: v_dual_sub_f32 v20, v13, v4
	s_delay_alu instid0(VALU_DEP_4) | instskip(NEXT) | instid1(VALU_DEP_3)
	v_fma_f32 v2, v30, 2.0, -v15
	v_fma_f32 v14, v29, 2.0, -v11
	;; [unrolled: 1-line block ×3, first 2 shown]
	v_dual_add_f32 v21, v5, v9 :: v_dual_add_f32 v16, v11, v16
	v_fma_f32 v3, v3, 2.0, -v12
	v_fma_f32 v9, v13, 2.0, -v20
	v_sub_f32_e32 v22, v6, v7
	s_delay_alu instid0(VALU_DEP_4)
	v_fma_f32 v10, v5, 2.0, -v21
	v_sub_f32_e32 v13, v14, v2
	v_sub_f32_e32 v23, v12, v15
	v_fma_f32 v7, v11, 2.0, -v16
	v_fma_f32 v8, v8, 2.0, -v17
	v_sub_f32_e32 v15, v3, v4
	v_fma_f32 v29, v6, 2.0, -v22
	v_fma_f32 v4, v14, 2.0, -v13
	;; [unrolled: 1-line block ×3, first 2 shown]
	v_dual_fmamk_f32 v2, v7, 0xbf3504f3, v10 :: v_dual_mul_f32 v11, v181, v86
	v_mul_f32_e32 v25, v61, v72
	s_delay_alu instid0(VALU_DEP_4) | instskip(SKIP_1) | instid1(VALU_DEP_4)
	v_sub_f32_e32 v4, v8, v4
	v_fmamk_f32 v12, v16, 0x3f3504f3, v21
	v_fmac_f32_e32 v2, 0x3f3504f3, v6
	v_fma_f32 v41, v180, v87, -v11
	v_sub_f32_e32 v11, v20, v13
	v_fmamk_f32 v13, v23, 0x3f3504f3, v22
	v_fma_f32 v5, v3, 2.0, -v15
	v_fmamk_f32 v3, v6, 0xbf3504f3, v29
	v_fma_f32 v6, v8, 2.0, -v4
	v_fma_f32 v8, v10, 2.0, -v2
	v_add_f32_e32 v10, v17, v15
	v_fma_f32 v15, v20, 2.0, -v11
	v_fmac_f32_e32 v12, 0x3f3504f3, v23
	v_dual_fmac_f32 v13, 0xbf3504f3, v16 :: v_dual_sub_f32 v16, v19, v37
	v_sub_f32_e32 v20, v40, v50
	v_fma_f32 v25, v60, v73, -v25
	v_sub_f32_e32 v23, v42, v26
	v_sub_f32_e32 v5, v9, v5
	v_fmac_f32_e32 v3, 0xbf3504f3, v7
	v_fma_f32 v14, v17, 2.0, -v10
	v_sub_f32_e32 v17, v18, v49
	v_fma_f32 v19, v19, 2.0, -v16
	v_sub_f32_e32 v30, v25, v36
	;; [unrolled: 2-line block ×3, first 2 shown]
	v_mul_f32_e32 v39, v152, v85
	v_fma_f32 v7, v9, 2.0, -v5
	v_fma_f32 v9, v29, 2.0, -v3
	;; [unrolled: 1-line block ×5, first 2 shown]
	v_sub_f32_e32 v37, v19, v31
	v_fma_f32 v31, v48, 2.0, -v27
	v_sub_f32_e32 v26, v24, v51
	v_sub_f32_e32 v36, v18, v29
	;; [unrolled: 1-line block ×3, first 2 shown]
	v_fma_f32 v40, v19, 2.0, -v37
	v_sub_f32_e32 v31, v25, v31
	v_fmac_f32_e32 v39, v151, v84
	v_fma_f32 v24, v24, 2.0, -v26
	v_dual_sub_f32 v34, v45, v34 :: v_dual_sub_f32 v41, v44, v41
	s_delay_alu instid0(VALU_DEP_3)
	v_dual_sub_f32 v33, v52, v33 :: v_dual_sub_f32 v32, v43, v39
	v_add_f32_e32 v39, v17, v23
	v_fma_f32 v23, v18, 2.0, -v36
	v_fma_f32 v18, v21, 2.0, -v12
	v_fma_f32 v45, v45, 2.0, -v34
	v_fma_f32 v29, v43, 2.0, -v32
	v_add_f32_e32 v43, v26, v27
	v_fma_f32 v27, v17, 2.0, -v39
	v_sub_f32_e32 v48, v30, v32
	v_fma_f32 v32, v16, 2.0, -v42
	v_sub_f32_e32 v29, v24, v29
	v_fma_f32 v26, v26, 2.0, -v43
	s_delay_alu instid0(VALU_DEP_4) | instskip(SKIP_1) | instid1(VALU_DEP_4)
	v_fma_f32 v19, v30, 2.0, -v48
	v_fmamk_f32 v30, v48, 0x3f3504f3, v42
	v_fma_f32 v20, v24, 2.0, -v29
	s_delay_alu instid0(VALU_DEP_4) | instskip(SKIP_4) | instid1(VALU_DEP_4)
	v_fmamk_f32 v16, v26, 0xbf3504f3, v27
	v_fma_f32 v24, v25, 2.0, -v31
	v_fmamk_f32 v17, v19, 0xbf3504f3, v32
	v_fmac_f32_e32 v30, 0xbf3504f3, v43
	v_sub_f32_e32 v20, v23, v20
	v_dual_fmac_f32 v16, 0x3f3504f3, v19 :: v_dual_sub_f32 v21, v40, v24
	s_delay_alu instid0(VALU_DEP_4) | instskip(SKIP_1) | instid1(VALU_DEP_3)
	v_dual_fmac_f32 v17, 0xbf3504f3, v26 :: v_dual_add_f32 v26, v36, v31
	v_fma_f32 v19, v22, 2.0, -v13
	v_fma_f32 v24, v27, 2.0, -v16
	v_sub_f32_e32 v27, v37, v29
	s_delay_alu instid0(VALU_DEP_4)
	v_fma_f32 v25, v32, 2.0, -v17
	v_fmamk_f32 v29, v43, 0x3f3504f3, v39
	v_fma_f32 v31, v36, 2.0, -v26
	v_sub_f32_e32 v43, v53, v56
	v_fma_f32 v32, v37, 2.0, -v27
	v_sub_f32_e32 v37, v1, v46
	v_fmac_f32_e32 v29, 0x3f3504f3, v48
	v_fma_f32 v22, v23, 2.0, -v20
	v_fma_f32 v23, v40, 2.0, -v21
	v_sub_f32_e32 v40, v38, v47
	v_fma_f32 v1, v1, 2.0, -v37
	v_fma_f32 v47, v53, 2.0, -v43
	;; [unrolled: 1-line block ×3, first 2 shown]
	v_sub_f32_e32 v51, v37, v33
	v_add_f32_e32 v53, v40, v41
	v_sub_f32_e32 v48, v1, v45
	v_sub_f32_e32 v36, v0, v55
	v_fma_f32 v38, v38, 2.0, -v40
	v_fma_f32 v56, v37, 2.0, -v51
	;; [unrolled: 1-line block ×4, first 2 shown]
	v_add_f32_e32 v49, v36, v34
	v_fma_f32 v34, v44, 2.0, -v41
	v_mul_f32_e32 v35, v181, v87
	v_fma_f32 v0, v0, 2.0, -v36
	ds_store_2addr_b64 v175, v[14:15], v[18:19] offset0:102 offset1:153
	ds_store_2addr_b64 v175, v[4:5], v[2:3] offset0:204 offset1:255
	;; [unrolled: 1-line block ×3, first 2 shown]
	v_fma_f32 v52, v36, 2.0, -v49
	v_dual_fmac_f32 v35, v180, v86 :: v_dual_add_nc_u32 v2, 0x400, v184
	s_delay_alu instid0(VALU_DEP_1) | instskip(NEXT) | instid1(VALU_DEP_1)
	v_dual_sub_f32 v46, v0, v46 :: v_dual_sub_f32 v35, v54, v35
	v_fma_f32 v44, v0, 2.0, -v46
	v_fma_f32 v0, v39, 2.0, -v29
	v_fmamk_f32 v39, v53, 0x3f3504f3, v49
	s_delay_alu instid0(VALU_DEP_4) | instskip(SKIP_2) | instid1(VALU_DEP_3)
	v_fma_f32 v45, v54, 2.0, -v35
	v_sub_f32_e32 v55, v43, v35
	v_dual_sub_f32 v54, v47, v34 :: v_dual_fmamk_f32 v35, v40, 0xbf3504f3, v52
	v_sub_f32_e32 v45, v38, v45
	s_delay_alu instid0(VALU_DEP_3) | instskip(NEXT) | instid1(VALU_DEP_3)
	v_fmac_f32_e32 v39, 0x3f3504f3, v55
	v_fma_f32 v34, v47, 2.0, -v54
	s_delay_alu instid0(VALU_DEP_3) | instskip(SKIP_1) | instid1(VALU_DEP_3)
	v_fma_f32 v1, v38, 2.0, -v45
	v_fma_f32 v38, v43, 2.0, -v55
	v_sub_f32_e32 v34, v50, v34
	v_add_f32_e32 v43, v46, v54
	v_fma_f32 v47, v49, 2.0, -v39
	s_delay_alu instid0(VALU_DEP_4) | instskip(SKIP_3) | instid1(VALU_DEP_4)
	v_dual_sub_f32 v33, v44, v1 :: v_dual_fmamk_f32 v36, v38, 0xbf3504f3, v56
	v_fmac_f32_e32 v35, 0x3f3504f3, v38
	v_fma_f32 v1, v42, 2.0, -v30
	v_fma_f32 v38, v50, 2.0, -v34
	;; [unrolled: 1-line block ×3, first 2 shown]
	v_fmac_f32_e32 v36, 0xbf3504f3, v40
	v_fmamk_f32 v40, v55, 0x3f3504f3, v51
	v_sub_f32_e32 v44, v48, v45
	v_fma_f32 v41, v52, 2.0, -v35
	v_fma_f32 v45, v46, 2.0, -v43
	v_fma_f32 v42, v56, 2.0, -v36
	v_fmac_f32_e32 v40, 0xbf3504f3, v53
	v_fma_f32 v46, v48, 2.0, -v44
	ds_store_2addr_b64 v175, v[6:7], v[22:23] offset1:17
	ds_store_2addr_b64 v184, v[24:25], v[31:32] offset0:51 offset1:102
	ds_store_2addr_b64 v184, v[0:1], v[20:21] offset0:153 offset1:204
	v_add_nc_u32_e32 v0, 0x400, v183
	v_mad_co_u64_u32 v[22:23], null, s6, v176, 0
	v_fma_f32 v48, v51, 2.0, -v40
	ds_store_2addr_b64 v2, v[16:17], v[26:27] offset0:127 offset1:178
	ds_store_2addr_b64 v175, v[37:38], v[8:9] offset0:34 offset1:51
	;; [unrolled: 1-line block ×5, first 2 shown]
	ds_store_b64 v184, v[29:30] offset:2856
	ds_store_b64 v183, v[39:40] offset:2856
	global_wb scope:SCOPE_SE
	s_wait_dscnt 0x0
	s_barrier_signal -1
	s_barrier_wait -1
	global_inv scope:SCOPE_SE
	ds_load_2addr_b64 v[0:3], v175 offset1:24
	ds_load_2addr_b64 v[4:7], v175 offset0:48 offset1:72
	s_clause 0x1
	scratch_load_b64 v[14:15], off, off offset:8 th:TH_LOAD_LU
	scratch_load_b64 v[29:30], off, off th:TH_LOAD_LU
	v_mad_co_u64_u32 v[24:25], null, s4, v140, 0
	s_wait_dscnt 0x1
	v_mul_f32_e32 v8, v178, v1
	s_delay_alu instid0(VALU_DEP_1) | instskip(SKIP_1) | instid1(VALU_DEP_2)
	v_fmac_f32_e32 v8, v177, v0
	v_mul_f32_e32 v0, v178, v0
	v_cvt_f64_f32_e32 v[8:9], v8
	s_delay_alu instid0(VALU_DEP_2) | instskip(NEXT) | instid1(VALU_DEP_1)
	v_fma_f32 v0, v177, v1, -v0
	v_cvt_f64_f32_e32 v[0:1], v0
	s_wait_alu 0xfffe
	s_delay_alu instid0(VALU_DEP_3) | instskip(NEXT) | instid1(VALU_DEP_1)
	v_mul_f64_e32 v[8:9], s[2:3], v[8:9]
	v_cvt_f32_f64_e32 v8, v[8:9]
	s_wait_loadcnt 0x1
	v_mul_f32_e32 v10, v15, v3
	s_wait_loadcnt_dscnt 0x0
	v_mul_f32_e32 v20, v30, v7
	s_delay_alu instid0(VALU_DEP_2)
	v_fmac_f32_e32 v10, v14, v2
	v_mul_f32_e32 v2, v15, v2
	scratch_load_b64 v[15:16], off, off offset:16 th:TH_LOAD_LU ; 8-byte Folded Reload
	v_fmac_f32_e32 v20, v29, v6
	v_mul_f32_e32 v6, v30, v6
	v_cvt_f64_f32_e32 v[10:11], v10
	v_fma_f32 v2, v14, v3, -v2
	s_delay_alu instid0(VALU_DEP_4) | instskip(NEXT) | instid1(VALU_DEP_2)
	v_cvt_f64_f32_e32 v[20:21], v20
	v_cvt_f64_f32_e32 v[2:3], v2
	s_delay_alu instid0(VALU_DEP_4) | instskip(NEXT) | instid1(VALU_DEP_1)
	v_mul_f64_e32 v[10:11], s[2:3], v[10:11]
	v_cvt_f32_f64_e32 v10, v[10:11]
	s_wait_loadcnt 0x0
	v_mul_f32_e32 v12, v16, v5
	v_mul_f32_e32 v13, v16, v4
	v_mul_f64_e32 v[16:17], s[2:3], v[2:3]
	s_delay_alu instid0(VALU_DEP_3) | instskip(NEXT) | instid1(VALU_DEP_3)
	v_fmac_f32_e32 v12, v15, v4
	v_fma_f32 v13, v15, v5, -v13
	v_mul_f64_e32 v[14:15], s[2:3], v[0:1]
	ds_load_2addr_b64 v[0:3], v175 offset0:96 offset1:120
	v_cvt_f64_f32_e32 v[4:5], v12
	v_cvt_f64_f32_e32 v[12:13], v13
	v_cvt_f32_f64_e32 v11, v[16:17]
	v_cvt_f32_f64_e32 v9, v[14:15]
	s_delay_alu instid0(VALU_DEP_4) | instskip(NEXT) | instid1(VALU_DEP_4)
	v_mul_f64_e32 v[18:19], s[2:3], v[4:5]
	v_mul_f64_e32 v[12:13], s[2:3], v[12:13]
	v_mov_b32_e32 v4, v23
	v_fma_f32 v23, v29, v7, -v6
	v_mov_b32_e32 v5, v25
	s_delay_alu instid0(VALU_DEP_2) | instskip(NEXT) | instid1(VALU_DEP_2)
	v_cvt_f64_f32_e32 v[29:30], v23
	v_mad_co_u64_u32 v[25:26], null, s7, v176, v[4:5]
	v_mad_co_u64_u32 v[26:27], null, s5, v140, v[5:6]
	ds_load_2addr_b64 v[4:7], v175 offset0:144 offset1:168
	s_wait_dscnt 0x1
	v_mul_f32_e32 v27, v144, v1
	s_mul_u64 s[6:7], s[4:5], 24
	v_mov_b32_e32 v23, v25
	s_wait_alu 0xfffe
	s_lshl_b64 s[6:7], s[6:7], 3
	v_fmac_f32_e32 v27, v143, v0
	v_dual_mul_f32 v0, v144, v0 :: v_dual_mov_b32 v25, v26
	s_delay_alu instid0(VALU_DEP_2) | instskip(NEXT) | instid1(VALU_DEP_2)
	v_cvt_f64_f32_e32 v[14:15], v27
	v_fma_f32 v0, v143, v1, -v0
	s_wait_dscnt 0x0
	v_dual_mul_f32 v1, v148, v2 :: v_dual_mul_f32 v26, v146, v5
	v_cvt_f32_f64_e32 v16, v[18:19]
	v_cvt_f32_f64_e32 v17, v[12:13]
	v_mul_f64_e32 v[12:13], s[2:3], v[20:21]
	v_dual_mul_f32 v20, v148, v3 :: v_dual_mul_f32 v21, v146, v4
	v_cvt_f64_f32_e32 v[18:19], v0
	v_fmac_f32_e32 v26, v145, v4
	s_delay_alu instid0(VALU_DEP_3)
	v_fmac_f32_e32 v20, v147, v2
	v_fma_f32 v2, v147, v3, -v1
	v_fma_f32 v3, v145, v5, -v21
	v_lshlrev_b64_e32 v[0:1], 3, v[22:23]
	v_cvt_f64_f32_e32 v[22:23], v26
	v_cvt_f64_f32_e32 v[4:5], v20
	;; [unrolled: 1-line block ×4, first 2 shown]
	v_lshlrev_b64_e32 v[2:3], 3, v[24:25]
	v_add_co_u32 v60, s0, s10, v0
	s_wait_alu 0xf1ff
	v_add_co_ci_u32_e64 v61, s0, s11, v1, s0
	v_mul_f64_e32 v[24:25], s[2:3], v[29:30]
	s_delay_alu instid0(VALU_DEP_3) | instskip(SKIP_1) | instid1(VALU_DEP_3)
	v_add_co_u32 v29, s0, v60, v2
	s_wait_alu 0xf1ff
	v_add_co_ci_u32_e64 v30, s0, v61, v3, s0
	ds_load_2addr_b64 v[0:3], v175 offset0:192 offset1:216
	s_wait_alu 0xfffe
	v_add_co_u32 v31, s0, v29, s6
	s_wait_alu 0xf1ff
	v_add_co_ci_u32_e64 v32, s0, s7, v30, s0
	v_mul_f64_e32 v[14:15], s[2:3], v[14:15]
	s_delay_alu instid0(VALU_DEP_3) | instskip(SKIP_1) | instid1(VALU_DEP_3)
	v_add_co_u32 v33, s0, v31, s6
	s_wait_alu 0xf1ff
	v_add_co_ci_u32_e64 v34, s0, s7, v32, s0
	s_clause 0x2
	global_store_b64 v[29:30], v[8:9], off
	global_store_b64 v[31:32], v[10:11], off
	;; [unrolled: 1-line block ×3, first 2 shown]
	v_mul_f32_e32 v8, v142, v7
	v_add_nc_u32_e32 v9, 0x400, v175
	v_cvt_f32_f64_e32 v12, v[12:13]
	v_add_co_u32 v33, s0, v33, s6
	s_delay_alu instid0(VALU_DEP_4)
	v_fmac_f32_e32 v8, v141, v6
	v_mul_f64_e32 v[16:17], s[2:3], v[18:19]
	v_mad_co_u64_u32 v[18:19], null, s4, v118, 0
	s_wait_dscnt 0x0
	v_mul_f32_e32 v31, v132, v1
	v_cvt_f64_f32_e32 v[29:30], v8
	ds_load_2addr_b64 v[8:11], v9 offset0:112 offset1:136
	v_dual_mul_f32 v13, v132, v0 :: v_dual_mul_f32 v6, v142, v6
	v_fmac_f32_e32 v31, v131, v0
	v_mov_b32_e32 v0, v19
	v_mul_f64_e32 v[20:21], s[2:3], v[20:21]
	s_delay_alu instid0(VALU_DEP_4)
	v_fma_f32 v1, v131, v1, -v13
	v_fma_f32 v6, v141, v7, -v6
	v_mul_f64_e32 v[22:23], s[2:3], v[22:23]
	v_mul_f64_e32 v[4:5], s[2:3], v[4:5]
	v_cvt_f32_f64_e32 v13, v[24:25]
	v_cvt_f64_f32_e32 v[35:36], v1
	v_mad_co_u64_u32 v[0:1], null, s5, v118, v[0:1]
	v_cvt_f64_f32_e32 v[24:25], v6
	v_mul_f32_e32 v1, v134, v3
	v_mul_f32_e32 v6, v134, v2
	v_mul_f64_e32 v[26:27], s[2:3], v[26:27]
	v_cvt_f64_f32_e32 v[31:32], v31
	s_wait_alu 0xf1ff
	v_add_co_ci_u32_e64 v34, s0, s7, v34, s0
	v_mov_b32_e32 v19, v0
	v_fmac_f32_e32 v1, v133, v2
	s_wait_dscnt 0x0
	v_mul_f32_e32 v37, v136, v9
	v_mul_f32_e32 v0, v136, v8
	v_fma_f32 v2, v133, v3, -v6
	v_lshlrev_b64_e32 v[6:7], 3, v[18:19]
	v_cvt_f64_f32_e32 v[18:19], v1
	v_fmac_f32_e32 v37, v135, v8
	v_fma_f32 v38, v135, v9, -v0
	v_cvt_f64_f32_e32 v[8:9], v2
	ds_load_2addr_b64 v[0:3], v28 offset0:32 offset1:56
	v_mul_f32_e32 v43, v130, v11
	v_cvt_f32_f64_e32 v14, v[14:15]
	v_cvt_f32_f64_e32 v15, v[16:17]
	v_cvt_f64_f32_e32 v[16:17], v37
	v_cvt_f64_f32_e32 v[37:38], v38
	v_fmac_f32_e32 v43, v129, v10
	v_add_co_u32 v39, s0, v60, v6
	s_wait_alu 0xf1ff
	v_add_co_ci_u32_e64 v40, s0, v61, v7, s0
	v_mul_f32_e32 v10, v130, v10
	v_cvt_f32_f64_e32 v42, v[20:21]
	v_add_co_u32 v55, s0, v33, s8
	v_cvt_f32_f64_e32 v20, v[22:23]
	v_mul_f64_e32 v[22:23], s[2:3], v[29:30]
	v_cvt_f32_f64_e32 v41, v[4:5]
	v_mul_f64_e32 v[29:30], s[2:3], v[35:36]
	ds_load_2addr_b64 v[4:7], v28 offset0:80 offset1:104
	s_wait_dscnt 0x1
	v_mul_f32_e32 v44, v128, v1
	v_mul_f32_e32 v35, v128, v0
	v_fma_f32 v36, v129, v11, -v10
	v_mul_f32_e32 v47, v126, v3
	v_mul_f32_e32 v48, v126, v2
	v_fmac_f32_e32 v44, v127, v0
	v_fma_f32 v45, v127, v1, -v35
	v_cvt_f64_f32_e32 v[0:1], v43
	v_cvt_f64_f32_e32 v[35:36], v36
	v_fmac_f32_e32 v47, v125, v2
	v_cvt_f64_f32_e32 v[43:44], v44
	ds_load_b64 v[10:11], v175 offset:3072
	v_cvt_f32_f64_e32 v21, v[26:27]
	v_mul_f64_e32 v[24:25], s[2:3], v[24:25]
	v_mul_f64_e32 v[18:19], s[2:3], v[18:19]
	v_fma_f32 v48, v125, v3, -v48
	v_mul_f64_e32 v[26:27], s[2:3], v[31:32]
	v_mul_f64_e32 v[8:9], s[2:3], v[8:9]
	v_cvt_f64_f32_e32 v[45:46], v45
	s_wait_dscnt 0x1
	v_mul_f32_e32 v49, v124, v5
	v_mul_f32_e32 v51, v122, v7
	v_mul_f32_e32 v52, v122, v6
	v_mul_f64_e32 v[2:3], s[2:3], v[16:17]
	v_mul_f64_e32 v[16:17], s[2:3], v[37:38]
	v_fmac_f32_e32 v49, v123, v4
	v_cvt_f64_f32_e32 v[37:38], v47
	v_mul_f32_e32 v4, v124, v4
	v_mad_co_u64_u32 v[31:32], null, s4, v114, 0
	s_delay_alu instid0(VALU_DEP_4)
	v_cvt_f64_f32_e32 v[49:50], v49
	v_fmac_f32_e32 v51, v121, v6
	s_wait_dscnt 0x0
	v_mul_f32_e32 v53, v120, v11
	v_mul_f32_e32 v54, v120, v10
	v_fma_f32 v4, v123, v5, -v4
	v_fma_f32 v52, v121, v7, -v52
	v_cvt_f64_f32_e32 v[47:48], v48
	v_fmac_f32_e32 v53, v119, v10
	v_fma_f32 v54, v119, v11, -v54
	v_cvt_f64_f32_e32 v[4:5], v4
	v_cvt_f64_f32_e32 v[6:7], v51
	;; [unrolled: 1-line block ×5, first 2 shown]
	s_wait_alu 0xf1ff
	v_add_co_ci_u32_e64 v56, s0, s9, v34, s0
	v_mad_co_u64_u32 v[57:58], null, s5, v114, v[32:33]
	v_mul_f64_e32 v[0:1], s[2:3], v[0:1]
	v_mul_f64_e32 v[43:44], s[2:3], v[43:44]
	;; [unrolled: 1-line block ×3, first 2 shown]
	v_add_co_u32 v58, s0, v55, s6
	s_wait_alu 0xf1ff
	v_add_co_ci_u32_e64 v59, s0, s7, v56, s0
	s_clause 0x2
	global_store_b64 v[33:34], v[12:13], off
	global_store_b64 v[39:40], v[14:15], off
	;; [unrolled: 1-line block ×4, first 2 shown]
	v_cvt_f32_f64_e32 v12, v[22:23]
	v_cvt_f32_f64_e32 v13, v[24:25]
	;; [unrolled: 1-line block ×8, first 2 shown]
	v_mul_f64_e32 v[8:9], s[2:3], v[37:38]
	v_mul_f64_e32 v[45:46], s[2:3], v[45:46]
	v_mov_b32_e32 v32, v57
	v_add_co_u32 v29, s0, v58, s6
	v_mul_f64_e32 v[22:23], s[2:3], v[49:50]
	s_wait_alu 0xf1ff
	v_add_co_ci_u32_e64 v30, s0, s7, v59, s0
	v_lshlrev_b64_e32 v[20:21], 3, v[31:32]
	v_mad_co_u64_u32 v[31:32], null, s4, v115, 0
	v_mul_f64_e32 v[16:17], s[2:3], v[47:48]
	v_mul_f64_e32 v[4:5], s[2:3], v[4:5]
	;; [unrolled: 1-line block ×6, first 2 shown]
	v_add_co_u32 v20, s0, v60, v20
	s_wait_alu 0xf1ff
	v_add_co_ci_u32_e64 v21, s0, v61, v21, s0
	v_cvt_f32_f64_e32 v0, v[0:1]
	v_cvt_f32_f64_e32 v33, v[43:44]
	;; [unrolled: 1-line block ×3, first 2 shown]
	v_add_co_u32 v35, s0, v29, s8
	s_wait_alu 0xf1ff
	v_add_co_ci_u32_e64 v36, s0, s9, v30, s0
	v_cvt_f32_f64_e32 v34, v[45:46]
	v_mad_co_u64_u32 v[37:38], null, s5, v115, v[32:33]
	v_add_co_u32 v38, s0, v35, s6
	s_wait_alu 0xf1ff
	v_add_co_ci_u32_e64 v39, s0, s7, v36, s0
	global_store_b64 v[29:30], v[12:13], off
	global_store_b64 v[20:21], v[14:15], off
	global_store_b64 v[35:36], v[18:19], off
	global_store_b64 v[38:39], v[2:3], off
	v_cvt_f32_f64_e32 v2, v[8:9]
	v_cvt_f32_f64_e32 v8, v[22:23]
	;; [unrolled: 1-line block ×8, first 2 shown]
	v_mov_b32_e32 v32, v37
	v_mad_co_u64_u32 v[6:7], null, s4, v117, 0
	v_add_co_u32 v14, s0, v38, s6
	s_delay_alu instid0(VALU_DEP_3) | instskip(SKIP_2) | instid1(VALU_DEP_2)
	v_lshlrev_b64_e32 v[12:13], 3, v[31:32]
	s_wait_alu 0xf1ff
	v_add_co_ci_u32_e64 v15, s0, s7, v39, s0
	v_add_co_u32 v12, s0, v60, v12
	s_wait_alu 0xf1ff
	s_delay_alu instid0(VALU_DEP_3)
	v_add_co_ci_u32_e64 v13, s0, v61, v13, s0
	global_store_b64 v[14:15], v[0:1], off
	global_store_b64 v[12:13], v[33:34], off
	v_add_co_u32 v12, s0, v14, s8
	s_wait_alu 0xf1ff
	v_add_co_ci_u32_e64 v13, s0, s9, v15, s0
	s_delay_alu instid0(VALU_DEP_2) | instskip(SKIP_1) | instid1(VALU_DEP_2)
	v_add_co_u32 v14, s0, v12, s6
	s_wait_alu 0xf1ff
	v_add_co_ci_u32_e64 v15, s0, s7, v13, s0
	s_delay_alu instid0(VALU_DEP_2) | instskip(SKIP_1) | instid1(VALU_DEP_2)
	v_add_co_u32 v0, s0, v14, s6
	s_wait_alu 0xf1ff
	v_add_co_ci_u32_e64 v1, s0, s7, v15, s0
	v_mad_co_u64_u32 v[16:17], null, s5, v117, v[7:8]
	s_delay_alu instid0(VALU_DEP_1) | instskip(NEXT) | instid1(VALU_DEP_1)
	v_mov_b32_e32 v7, v16
	v_lshlrev_b64_e32 v[6:7], 3, v[6:7]
	s_delay_alu instid0(VALU_DEP_1) | instskip(SKIP_1) | instid1(VALU_DEP_2)
	v_add_co_u32 v6, s0, v60, v6
	s_wait_alu 0xf1ff
	v_add_co_ci_u32_e64 v7, s0, v61, v7, s0
	global_store_b64 v[12:13], v[2:3], off
	global_store_b64 v[14:15], v[8:9], off
	;; [unrolled: 1-line block ×4, first 2 shown]
	s_and_b32 exec_lo, exec_lo, vcc_lo
	s_cbranch_execz .LBB0_15
; %bb.14:
	global_load_b64 v[6:7], v[112:113], off offset:136
	ds_load_2addr_b64 v[2:5], v175 offset0:17 offset1:41
	v_mad_co_u64_u32 v[0:1], null, 0xfffff548, s4, v[0:1]
	s_mul_i32 s0, s5, 0xfffff548
	s_wait_alu 0xfffe
	s_sub_co_i32 s0, s0, s4
	s_wait_loadcnt_dscnt 0x0
	s_wait_alu 0xfffe
	s_delay_alu instid0(VALU_DEP_1) | instskip(SKIP_1) | instid1(VALU_DEP_2)
	v_dual_mul_f32 v8, v3, v7 :: v_dual_add_nc_u32 v1, s0, v1
	v_mul_f32_e32 v7, v2, v7
	v_fmac_f32_e32 v8, v2, v6
	s_delay_alu instid0(VALU_DEP_2) | instskip(NEXT) | instid1(VALU_DEP_2)
	v_fma_f32 v6, v6, v3, -v7
	v_cvt_f64_f32_e32 v[2:3], v8
	s_delay_alu instid0(VALU_DEP_2) | instskip(NEXT) | instid1(VALU_DEP_2)
	v_cvt_f64_f32_e32 v[6:7], v6
	v_mul_f64_e32 v[2:3], s[2:3], v[2:3]
	s_delay_alu instid0(VALU_DEP_2) | instskip(NEXT) | instid1(VALU_DEP_2)
	v_mul_f64_e32 v[6:7], s[2:3], v[6:7]
	v_cvt_f32_f64_e32 v2, v[2:3]
	s_delay_alu instid0(VALU_DEP_2)
	v_cvt_f32_f64_e32 v3, v[6:7]
	global_store_b64 v[0:1], v[2:3], off
	global_load_b64 v[2:3], v[112:113], off offset:328
	s_wait_loadcnt 0x0
	v_mul_f32_e32 v6, v5, v3
	v_mul_f32_e32 v3, v4, v3
	s_delay_alu instid0(VALU_DEP_2) | instskip(NEXT) | instid1(VALU_DEP_2)
	v_fmac_f32_e32 v6, v4, v2
	v_fma_f32 v4, v2, v5, -v3
	s_delay_alu instid0(VALU_DEP_2) | instskip(NEXT) | instid1(VALU_DEP_2)
	v_cvt_f64_f32_e32 v[2:3], v6
	v_cvt_f64_f32_e32 v[4:5], v4
	s_delay_alu instid0(VALU_DEP_2) | instskip(NEXT) | instid1(VALU_DEP_2)
	v_mul_f64_e32 v[2:3], s[2:3], v[2:3]
	v_mul_f64_e32 v[4:5], s[2:3], v[4:5]
	s_delay_alu instid0(VALU_DEP_2) | instskip(NEXT) | instid1(VALU_DEP_2)
	v_cvt_f32_f64_e32 v2, v[2:3]
	v_cvt_f32_f64_e32 v3, v[4:5]
	v_add_co_u32 v4, vcc_lo, v0, s6
	s_wait_alu 0xfffd
	v_add_co_ci_u32_e32 v5, vcc_lo, s7, v1, vcc_lo
	global_store_b64 v[4:5], v[2:3], off
	global_load_b64 v[6:7], v[112:113], off offset:520
	ds_load_2addr_b64 v[0:3], v175 offset0:65 offset1:89
	v_add_co_u32 v4, vcc_lo, v4, s6
	s_wait_alu 0xfffd
	v_add_co_ci_u32_e32 v5, vcc_lo, s7, v5, vcc_lo
	s_wait_loadcnt_dscnt 0x0
	v_mul_f32_e32 v8, v1, v7
	v_mul_f32_e32 v7, v0, v7
	s_delay_alu instid0(VALU_DEP_2) | instskip(NEXT) | instid1(VALU_DEP_2)
	v_fmac_f32_e32 v8, v0, v6
	v_fma_f32 v6, v6, v1, -v7
	s_delay_alu instid0(VALU_DEP_2) | instskip(NEXT) | instid1(VALU_DEP_2)
	v_cvt_f64_f32_e32 v[0:1], v8
	v_cvt_f64_f32_e32 v[6:7], v6
	s_delay_alu instid0(VALU_DEP_2) | instskip(NEXT) | instid1(VALU_DEP_2)
	v_mul_f64_e32 v[0:1], s[2:3], v[0:1]
	v_mul_f64_e32 v[6:7], s[2:3], v[6:7]
	s_delay_alu instid0(VALU_DEP_2) | instskip(NEXT) | instid1(VALU_DEP_2)
	v_cvt_f32_f64_e32 v0, v[0:1]
	v_cvt_f32_f64_e32 v1, v[6:7]
	global_store_b64 v[4:5], v[0:1], off
	global_load_b64 v[0:1], v[112:113], off offset:712
	v_add_co_u32 v4, vcc_lo, v4, s6
	s_wait_alu 0xfffd
	v_add_co_ci_u32_e32 v5, vcc_lo, s7, v5, vcc_lo
	s_wait_loadcnt 0x0
	v_mul_f32_e32 v6, v3, v1
	v_mul_f32_e32 v1, v2, v1
	s_delay_alu instid0(VALU_DEP_2) | instskip(NEXT) | instid1(VALU_DEP_2)
	v_fmac_f32_e32 v6, v2, v0
	v_fma_f32 v2, v0, v3, -v1
	s_delay_alu instid0(VALU_DEP_2) | instskip(NEXT) | instid1(VALU_DEP_2)
	v_cvt_f64_f32_e32 v[0:1], v6
	v_cvt_f64_f32_e32 v[2:3], v2
	s_delay_alu instid0(VALU_DEP_2) | instskip(NEXT) | instid1(VALU_DEP_2)
	v_mul_f64_e32 v[0:1], s[2:3], v[0:1]
	v_mul_f64_e32 v[2:3], s[2:3], v[2:3]
	s_delay_alu instid0(VALU_DEP_2) | instskip(NEXT) | instid1(VALU_DEP_2)
	v_cvt_f32_f64_e32 v0, v[0:1]
	v_cvt_f32_f64_e32 v1, v[2:3]
	global_store_b64 v[4:5], v[0:1], off
	global_load_b64 v[6:7], v[112:113], off offset:904
	ds_load_2addr_b64 v[0:3], v175 offset0:113 offset1:137
	v_add_co_u32 v4, vcc_lo, v4, s6
	s_wait_alu 0xfffd
	v_add_co_ci_u32_e32 v5, vcc_lo, s7, v5, vcc_lo
	s_wait_loadcnt_dscnt 0x0
	v_mul_f32_e32 v8, v1, v7
	v_mul_f32_e32 v7, v0, v7
	s_delay_alu instid0(VALU_DEP_2) | instskip(NEXT) | instid1(VALU_DEP_2)
	v_fmac_f32_e32 v8, v0, v6
	v_fma_f32 v6, v6, v1, -v7
	s_delay_alu instid0(VALU_DEP_2) | instskip(NEXT) | instid1(VALU_DEP_2)
	v_cvt_f64_f32_e32 v[0:1], v8
	v_cvt_f64_f32_e32 v[6:7], v6
	s_delay_alu instid0(VALU_DEP_2) | instskip(NEXT) | instid1(VALU_DEP_2)
	v_mul_f64_e32 v[0:1], s[2:3], v[0:1]
	v_mul_f64_e32 v[6:7], s[2:3], v[6:7]
	s_delay_alu instid0(VALU_DEP_2) | instskip(NEXT) | instid1(VALU_DEP_2)
	v_cvt_f32_f64_e32 v0, v[0:1]
	v_cvt_f32_f64_e32 v1, v[6:7]
	global_store_b64 v[4:5], v[0:1], off
	global_load_b64 v[0:1], v[112:113], off offset:1096
	v_add_co_u32 v4, vcc_lo, v4, s6
	s_wait_alu 0xfffd
	v_add_co_ci_u32_e32 v5, vcc_lo, s7, v5, vcc_lo
	s_wait_loadcnt 0x0
	v_mul_f32_e32 v6, v3, v1
	v_mul_f32_e32 v1, v2, v1
	s_delay_alu instid0(VALU_DEP_2) | instskip(NEXT) | instid1(VALU_DEP_2)
	v_fmac_f32_e32 v6, v2, v0
	v_fma_f32 v2, v0, v3, -v1
	s_delay_alu instid0(VALU_DEP_2) | instskip(NEXT) | instid1(VALU_DEP_2)
	v_cvt_f64_f32_e32 v[0:1], v6
	v_cvt_f64_f32_e32 v[2:3], v2
	s_delay_alu instid0(VALU_DEP_2) | instskip(NEXT) | instid1(VALU_DEP_2)
	v_mul_f64_e32 v[0:1], s[2:3], v[0:1]
	v_mul_f64_e32 v[2:3], s[2:3], v[2:3]
	s_delay_alu instid0(VALU_DEP_2) | instskip(NEXT) | instid1(VALU_DEP_2)
	v_cvt_f32_f64_e32 v0, v[0:1]
	v_cvt_f32_f64_e32 v1, v[2:3]
	;; [unrolled: 41-line block ×6, first 2 shown]
	global_store_b64 v[4:5], v[0:1], off
	global_load_b64 v[6:7], v[112:113], off offset:2824
	ds_load_2addr_b64 v[0:3], v28 offset0:97 offset1:121
	v_add_co_u32 v4, vcc_lo, v4, s6
	s_wait_alu 0xfffd
	v_add_co_ci_u32_e32 v5, vcc_lo, s7, v5, vcc_lo
	s_wait_loadcnt_dscnt 0x0
	v_mul_f32_e32 v8, v1, v7
	v_mul_f32_e32 v7, v0, v7
	s_delay_alu instid0(VALU_DEP_2) | instskip(NEXT) | instid1(VALU_DEP_2)
	v_fmac_f32_e32 v8, v0, v6
	v_fma_f32 v6, v6, v1, -v7
	s_delay_alu instid0(VALU_DEP_2) | instskip(NEXT) | instid1(VALU_DEP_2)
	v_cvt_f64_f32_e32 v[0:1], v8
	v_cvt_f64_f32_e32 v[6:7], v6
	s_delay_alu instid0(VALU_DEP_2) | instskip(NEXT) | instid1(VALU_DEP_2)
	v_mul_f64_e32 v[0:1], s[2:3], v[0:1]
	v_mul_f64_e32 v[6:7], s[2:3], v[6:7]
	s_delay_alu instid0(VALU_DEP_2) | instskip(NEXT) | instid1(VALU_DEP_2)
	v_cvt_f32_f64_e32 v0, v[0:1]
	v_cvt_f32_f64_e32 v1, v[6:7]
	global_store_b64 v[4:5], v[0:1], off
	global_load_b64 v[0:1], v[112:113], off offset:3016
	s_wait_loadcnt 0x0
	v_mul_f32_e32 v6, v3, v1
	v_mul_f32_e32 v1, v2, v1
	s_delay_alu instid0(VALU_DEP_2) | instskip(NEXT) | instid1(VALU_DEP_2)
	v_fmac_f32_e32 v6, v2, v0
	v_fma_f32 v2, v0, v3, -v1
	s_delay_alu instid0(VALU_DEP_2) | instskip(NEXT) | instid1(VALU_DEP_2)
	v_cvt_f64_f32_e32 v[0:1], v6
	v_cvt_f64_f32_e32 v[2:3], v2
	s_delay_alu instid0(VALU_DEP_2) | instskip(NEXT) | instid1(VALU_DEP_2)
	v_mul_f64_e32 v[0:1], s[2:3], v[0:1]
	v_mul_f64_e32 v[2:3], s[2:3], v[2:3]
	s_delay_alu instid0(VALU_DEP_2) | instskip(NEXT) | instid1(VALU_DEP_2)
	v_cvt_f32_f64_e32 v0, v[0:1]
	v_cvt_f32_f64_e32 v1, v[2:3]
	v_add_co_u32 v2, vcc_lo, v4, s6
	s_wait_alu 0xfffd
	v_add_co_ci_u32_e32 v3, vcc_lo, s7, v5, vcc_lo
	ds_load_b64 v[4:5], v175 offset:3208
	global_store_b64 v[2:3], v[0:1], off
	global_load_b64 v[0:1], v[112:113], off offset:3208
	v_add_co_u32 v2, vcc_lo, v2, s6
	s_wait_alu 0xfffd
	v_add_co_ci_u32_e32 v3, vcc_lo, s7, v3, vcc_lo
	s_wait_loadcnt_dscnt 0x0
	v_mul_f32_e32 v6, v5, v1
	v_mul_f32_e32 v1, v4, v1
	s_delay_alu instid0(VALU_DEP_2) | instskip(NEXT) | instid1(VALU_DEP_2)
	v_fmac_f32_e32 v6, v4, v0
	v_fma_f32 v4, v0, v5, -v1
	s_delay_alu instid0(VALU_DEP_2) | instskip(NEXT) | instid1(VALU_DEP_2)
	v_cvt_f64_f32_e32 v[0:1], v6
	v_cvt_f64_f32_e32 v[4:5], v4
	s_delay_alu instid0(VALU_DEP_2) | instskip(NEXT) | instid1(VALU_DEP_2)
	v_mul_f64_e32 v[0:1], s[2:3], v[0:1]
	v_mul_f64_e32 v[4:5], s[2:3], v[4:5]
	s_delay_alu instid0(VALU_DEP_2) | instskip(NEXT) | instid1(VALU_DEP_2)
	v_cvt_f32_f64_e32 v0, v[0:1]
	v_cvt_f32_f64_e32 v1, v[4:5]
	global_store_b64 v[2:3], v[0:1], off
.LBB0_15:
	s_nop 0
	s_sendmsg sendmsg(MSG_DEALLOC_VGPRS)
	s_endpgm
	.section	.rodata,"a",@progbits
	.p2align	6, 0x0
	.amdhsa_kernel bluestein_single_fwd_len408_dim1_sp_op_CI_CI
		.amdhsa_group_segment_fixed_size 9792
		.amdhsa_private_segment_fixed_size 136
		.amdhsa_kernarg_size 104
		.amdhsa_user_sgpr_count 2
		.amdhsa_user_sgpr_dispatch_ptr 0
		.amdhsa_user_sgpr_queue_ptr 0
		.amdhsa_user_sgpr_kernarg_segment_ptr 1
		.amdhsa_user_sgpr_dispatch_id 0
		.amdhsa_user_sgpr_private_segment_size 0
		.amdhsa_wavefront_size32 1
		.amdhsa_uses_dynamic_stack 0
		.amdhsa_enable_private_segment 1
		.amdhsa_system_sgpr_workgroup_id_x 1
		.amdhsa_system_sgpr_workgroup_id_y 0
		.amdhsa_system_sgpr_workgroup_id_z 0
		.amdhsa_system_sgpr_workgroup_info 0
		.amdhsa_system_vgpr_workitem_id 0
		.amdhsa_next_free_vgpr 256
		.amdhsa_next_free_sgpr 18
		.amdhsa_reserve_vcc 1
		.amdhsa_float_round_mode_32 0
		.amdhsa_float_round_mode_16_64 0
		.amdhsa_float_denorm_mode_32 3
		.amdhsa_float_denorm_mode_16_64 3
		.amdhsa_fp16_overflow 0
		.amdhsa_workgroup_processor_mode 1
		.amdhsa_memory_ordered 1
		.amdhsa_forward_progress 0
		.amdhsa_round_robin_scheduling 0
		.amdhsa_exception_fp_ieee_invalid_op 0
		.amdhsa_exception_fp_denorm_src 0
		.amdhsa_exception_fp_ieee_div_zero 0
		.amdhsa_exception_fp_ieee_overflow 0
		.amdhsa_exception_fp_ieee_underflow 0
		.amdhsa_exception_fp_ieee_inexact 0
		.amdhsa_exception_int_div_zero 0
	.end_amdhsa_kernel
	.text
.Lfunc_end0:
	.size	bluestein_single_fwd_len408_dim1_sp_op_CI_CI, .Lfunc_end0-bluestein_single_fwd_len408_dim1_sp_op_CI_CI
                                        ; -- End function
	.section	.AMDGPU.csdata,"",@progbits
; Kernel info:
; codeLenInByte = 37988
; NumSgprs: 20
; NumVgprs: 256
; ScratchSize: 136
; MemoryBound: 0
; FloatMode: 240
; IeeeMode: 1
; LDSByteSize: 9792 bytes/workgroup (compile time only)
; SGPRBlocks: 2
; VGPRBlocks: 31
; NumSGPRsForWavesPerEU: 20
; NumVGPRsForWavesPerEU: 256
; Occupancy: 5
; WaveLimiterHint : 1
; COMPUTE_PGM_RSRC2:SCRATCH_EN: 1
; COMPUTE_PGM_RSRC2:USER_SGPR: 2
; COMPUTE_PGM_RSRC2:TRAP_HANDLER: 0
; COMPUTE_PGM_RSRC2:TGID_X_EN: 1
; COMPUTE_PGM_RSRC2:TGID_Y_EN: 0
; COMPUTE_PGM_RSRC2:TGID_Z_EN: 0
; COMPUTE_PGM_RSRC2:TIDIG_COMP_CNT: 0
	.text
	.p2alignl 7, 3214868480
	.fill 96, 4, 3214868480
	.type	__hip_cuid_af712a9d63139485,@object ; @__hip_cuid_af712a9d63139485
	.section	.bss,"aw",@nobits
	.globl	__hip_cuid_af712a9d63139485
__hip_cuid_af712a9d63139485:
	.byte	0                               ; 0x0
	.size	__hip_cuid_af712a9d63139485, 1

	.ident	"AMD clang version 19.0.0git (https://github.com/RadeonOpenCompute/llvm-project roc-6.4.0 25133 c7fe45cf4b819c5991fe208aaa96edf142730f1d)"
	.section	".note.GNU-stack","",@progbits
	.addrsig
	.addrsig_sym __hip_cuid_af712a9d63139485
	.amdgpu_metadata
---
amdhsa.kernels:
  - .args:
      - .actual_access:  read_only
        .address_space:  global
        .offset:         0
        .size:           8
        .value_kind:     global_buffer
      - .actual_access:  read_only
        .address_space:  global
        .offset:         8
        .size:           8
        .value_kind:     global_buffer
      - .actual_access:  read_only
        .address_space:  global
        .offset:         16
        .size:           8
        .value_kind:     global_buffer
      - .actual_access:  read_only
        .address_space:  global
        .offset:         24
        .size:           8
        .value_kind:     global_buffer
      - .actual_access:  read_only
        .address_space:  global
        .offset:         32
        .size:           8
        .value_kind:     global_buffer
      - .offset:         40
        .size:           8
        .value_kind:     by_value
      - .address_space:  global
        .offset:         48
        .size:           8
        .value_kind:     global_buffer
      - .address_space:  global
        .offset:         56
        .size:           8
        .value_kind:     global_buffer
      - .address_space:  global
        .offset:         64
        .size:           8
        .value_kind:     global_buffer
      - .address_space:  global
        .offset:         72
        .size:           8
        .value_kind:     global_buffer
      - .offset:         80
        .size:           4
        .value_kind:     by_value
      - .address_space:  global
        .offset:         88
        .size:           8
        .value_kind:     global_buffer
      - .address_space:  global
        .offset:         96
        .size:           8
        .value_kind:     global_buffer
    .group_segment_fixed_size: 9792
    .kernarg_segment_align: 8
    .kernarg_segment_size: 104
    .language:       OpenCL C
    .language_version:
      - 2
      - 0
    .max_flat_workgroup_size: 51
    .name:           bluestein_single_fwd_len408_dim1_sp_op_CI_CI
    .private_segment_fixed_size: 136
    .sgpr_count:     20
    .sgpr_spill_count: 0
    .symbol:         bluestein_single_fwd_len408_dim1_sp_op_CI_CI.kd
    .uniform_work_group_size: 1
    .uses_dynamic_stack: false
    .vgpr_count:     256
    .vgpr_spill_count: 33
    .wavefront_size: 32
    .workgroup_processor_mode: 1
amdhsa.target:   amdgcn-amd-amdhsa--gfx1201
amdhsa.version:
  - 1
  - 2
...

	.end_amdgpu_metadata
